;; amdgpu-corpus repo=ROCm/rocFFT kind=compiled arch=gfx1030 opt=O3
	.text
	.amdgcn_target "amdgcn-amd-amdhsa--gfx1030"
	.amdhsa_code_object_version 6
	.protected	fft_rtc_back_len1428_factors_17_2_7_6_wgs_119_tpt_119_halfLds_half_ip_CI_unitstride_sbrr_dirReg ; -- Begin function fft_rtc_back_len1428_factors_17_2_7_6_wgs_119_tpt_119_halfLds_half_ip_CI_unitstride_sbrr_dirReg
	.globl	fft_rtc_back_len1428_factors_17_2_7_6_wgs_119_tpt_119_halfLds_half_ip_CI_unitstride_sbrr_dirReg
	.p2align	8
	.type	fft_rtc_back_len1428_factors_17_2_7_6_wgs_119_tpt_119_halfLds_half_ip_CI_unitstride_sbrr_dirReg,@function
fft_rtc_back_len1428_factors_17_2_7_6_wgs_119_tpt_119_halfLds_half_ip_CI_unitstride_sbrr_dirReg: ; @fft_rtc_back_len1428_factors_17_2_7_6_wgs_119_tpt_119_halfLds_half_ip_CI_unitstride_sbrr_dirReg
; %bb.0:
	s_clause 0x2
	s_load_dwordx4 s[8:11], s[4:5], 0x0
	s_load_dwordx2 s[2:3], s[4:5], 0x50
	s_load_dwordx2 s[12:13], s[4:5], 0x18
	v_mul_u32_u24_e32 v1, 0x227, v0
	v_mov_b32_e32 v3, 0
	v_add_nc_u32_sdwa v5, s6, v1 dst_sel:DWORD dst_unused:UNUSED_PAD src0_sel:DWORD src1_sel:WORD_1
	v_mov_b32_e32 v1, 0
	v_mov_b32_e32 v6, v3
	v_mov_b32_e32 v2, 0
	s_waitcnt lgkmcnt(0)
	v_cmp_lt_u64_e64 s0, s[10:11], 2
	s_and_b32 vcc_lo, exec_lo, s0
	s_cbranch_vccnz .LBB0_8
; %bb.1:
	s_load_dwordx2 s[0:1], s[4:5], 0x10
	v_mov_b32_e32 v1, 0
	s_add_u32 s6, s12, 8
	v_mov_b32_e32 v2, 0
	s_addc_u32 s7, s13, 0
	s_mov_b64 s[16:17], 1
	s_waitcnt lgkmcnt(0)
	s_add_u32 s14, s0, 8
	s_addc_u32 s15, s1, 0
.LBB0_2:                                ; =>This Inner Loop Header: Depth=1
	s_load_dwordx2 s[18:19], s[14:15], 0x0
                                        ; implicit-def: $vgpr8_vgpr9
	s_mov_b32 s0, exec_lo
	s_waitcnt lgkmcnt(0)
	v_or_b32_e32 v4, s19, v6
	v_cmpx_ne_u64_e32 0, v[3:4]
	s_xor_b32 s1, exec_lo, s0
	s_cbranch_execz .LBB0_4
; %bb.3:                                ;   in Loop: Header=BB0_2 Depth=1
	v_cvt_f32_u32_e32 v4, s18
	v_cvt_f32_u32_e32 v7, s19
	s_sub_u32 s0, 0, s18
	s_subb_u32 s20, 0, s19
	v_fmac_f32_e32 v4, 0x4f800000, v7
	v_rcp_f32_e32 v4, v4
	v_mul_f32_e32 v4, 0x5f7ffffc, v4
	v_mul_f32_e32 v7, 0x2f800000, v4
	v_trunc_f32_e32 v7, v7
	v_fmac_f32_e32 v4, 0xcf800000, v7
	v_cvt_u32_f32_e32 v7, v7
	v_cvt_u32_f32_e32 v4, v4
	v_mul_lo_u32 v8, s0, v7
	v_mul_hi_u32 v9, s0, v4
	v_mul_lo_u32 v10, s20, v4
	v_add_nc_u32_e32 v8, v9, v8
	v_mul_lo_u32 v9, s0, v4
	v_add_nc_u32_e32 v8, v8, v10
	v_mul_hi_u32 v10, v4, v9
	v_mul_lo_u32 v11, v4, v8
	v_mul_hi_u32 v12, v4, v8
	v_mul_hi_u32 v13, v7, v9
	v_mul_lo_u32 v9, v7, v9
	v_mul_hi_u32 v14, v7, v8
	v_mul_lo_u32 v8, v7, v8
	v_add_co_u32 v10, vcc_lo, v10, v11
	v_add_co_ci_u32_e32 v11, vcc_lo, 0, v12, vcc_lo
	v_add_co_u32 v9, vcc_lo, v10, v9
	v_add_co_ci_u32_e32 v9, vcc_lo, v11, v13, vcc_lo
	v_add_co_ci_u32_e32 v10, vcc_lo, 0, v14, vcc_lo
	v_add_co_u32 v8, vcc_lo, v9, v8
	v_add_co_ci_u32_e32 v9, vcc_lo, 0, v10, vcc_lo
	v_add_co_u32 v4, vcc_lo, v4, v8
	v_add_co_ci_u32_e32 v7, vcc_lo, v7, v9, vcc_lo
	v_mul_hi_u32 v8, s0, v4
	v_mul_lo_u32 v10, s20, v4
	v_mul_lo_u32 v9, s0, v7
	v_add_nc_u32_e32 v8, v8, v9
	v_mul_lo_u32 v9, s0, v4
	v_add_nc_u32_e32 v8, v8, v10
	v_mul_hi_u32 v10, v4, v9
	v_mul_lo_u32 v11, v4, v8
	v_mul_hi_u32 v12, v4, v8
	v_mul_hi_u32 v13, v7, v9
	v_mul_lo_u32 v9, v7, v9
	v_mul_hi_u32 v14, v7, v8
	v_mul_lo_u32 v8, v7, v8
	v_add_co_u32 v10, vcc_lo, v10, v11
	v_add_co_ci_u32_e32 v11, vcc_lo, 0, v12, vcc_lo
	v_add_co_u32 v9, vcc_lo, v10, v9
	v_add_co_ci_u32_e32 v9, vcc_lo, v11, v13, vcc_lo
	v_add_co_ci_u32_e32 v10, vcc_lo, 0, v14, vcc_lo
	v_add_co_u32 v8, vcc_lo, v9, v8
	v_add_co_ci_u32_e32 v9, vcc_lo, 0, v10, vcc_lo
	v_add_co_u32 v4, vcc_lo, v4, v8
	v_add_co_ci_u32_e32 v11, vcc_lo, v7, v9, vcc_lo
	v_mul_hi_u32 v13, v5, v4
	v_mad_u64_u32 v[9:10], null, v6, v4, 0
	v_mad_u64_u32 v[7:8], null, v5, v11, 0
	;; [unrolled: 1-line block ×3, first 2 shown]
	v_add_co_u32 v4, vcc_lo, v13, v7
	v_add_co_ci_u32_e32 v7, vcc_lo, 0, v8, vcc_lo
	v_add_co_u32 v4, vcc_lo, v4, v9
	v_add_co_ci_u32_e32 v4, vcc_lo, v7, v10, vcc_lo
	v_add_co_ci_u32_e32 v7, vcc_lo, 0, v12, vcc_lo
	v_add_co_u32 v4, vcc_lo, v4, v11
	v_add_co_ci_u32_e32 v9, vcc_lo, 0, v7, vcc_lo
	v_mul_lo_u32 v10, s19, v4
	v_mad_u64_u32 v[7:8], null, s18, v4, 0
	v_mul_lo_u32 v11, s18, v9
	v_sub_co_u32 v7, vcc_lo, v5, v7
	v_add3_u32 v8, v8, v11, v10
	v_sub_nc_u32_e32 v10, v6, v8
	v_subrev_co_ci_u32_e64 v10, s0, s19, v10, vcc_lo
	v_add_co_u32 v11, s0, v4, 2
	v_add_co_ci_u32_e64 v12, s0, 0, v9, s0
	v_sub_co_u32 v13, s0, v7, s18
	v_sub_co_ci_u32_e32 v8, vcc_lo, v6, v8, vcc_lo
	v_subrev_co_ci_u32_e64 v10, s0, 0, v10, s0
	v_cmp_le_u32_e32 vcc_lo, s18, v13
	v_cmp_eq_u32_e64 s0, s19, v8
	v_cndmask_b32_e64 v13, 0, -1, vcc_lo
	v_cmp_le_u32_e32 vcc_lo, s19, v10
	v_cndmask_b32_e64 v14, 0, -1, vcc_lo
	v_cmp_le_u32_e32 vcc_lo, s18, v7
	;; [unrolled: 2-line block ×3, first 2 shown]
	v_cndmask_b32_e64 v15, 0, -1, vcc_lo
	v_cmp_eq_u32_e32 vcc_lo, s19, v10
	v_cndmask_b32_e64 v7, v15, v7, s0
	v_cndmask_b32_e32 v10, v14, v13, vcc_lo
	v_add_co_u32 v13, vcc_lo, v4, 1
	v_add_co_ci_u32_e32 v14, vcc_lo, 0, v9, vcc_lo
	v_cmp_ne_u32_e32 vcc_lo, 0, v10
	v_cndmask_b32_e32 v8, v14, v12, vcc_lo
	v_cndmask_b32_e32 v10, v13, v11, vcc_lo
	v_cmp_ne_u32_e32 vcc_lo, 0, v7
	v_cndmask_b32_e32 v9, v9, v8, vcc_lo
	v_cndmask_b32_e32 v8, v4, v10, vcc_lo
.LBB0_4:                                ;   in Loop: Header=BB0_2 Depth=1
	s_andn2_saveexec_b32 s0, s1
	s_cbranch_execz .LBB0_6
; %bb.5:                                ;   in Loop: Header=BB0_2 Depth=1
	v_cvt_f32_u32_e32 v4, s18
	s_sub_i32 s1, 0, s18
	v_rcp_iflag_f32_e32 v4, v4
	v_mul_f32_e32 v4, 0x4f7ffffe, v4
	v_cvt_u32_f32_e32 v4, v4
	v_mul_lo_u32 v7, s1, v4
	v_mul_hi_u32 v7, v4, v7
	v_add_nc_u32_e32 v4, v4, v7
	v_mul_hi_u32 v4, v5, v4
	v_mul_lo_u32 v7, v4, s18
	v_add_nc_u32_e32 v8, 1, v4
	v_sub_nc_u32_e32 v7, v5, v7
	v_subrev_nc_u32_e32 v9, s18, v7
	v_cmp_le_u32_e32 vcc_lo, s18, v7
	v_cndmask_b32_e32 v7, v7, v9, vcc_lo
	v_cndmask_b32_e32 v4, v4, v8, vcc_lo
	v_mov_b32_e32 v9, v3
	v_cmp_le_u32_e32 vcc_lo, s18, v7
	v_add_nc_u32_e32 v8, 1, v4
	v_cndmask_b32_e32 v8, v4, v8, vcc_lo
.LBB0_6:                                ;   in Loop: Header=BB0_2 Depth=1
	s_or_b32 exec_lo, exec_lo, s0
	s_load_dwordx2 s[0:1], s[6:7], 0x0
	v_mul_lo_u32 v4, v9, s18
	v_mul_lo_u32 v7, v8, s19
	v_mad_u64_u32 v[10:11], null, v8, s18, 0
	s_add_u32 s16, s16, 1
	s_addc_u32 s17, s17, 0
	s_add_u32 s6, s6, 8
	s_addc_u32 s7, s7, 0
	;; [unrolled: 2-line block ×3, first 2 shown]
	v_add3_u32 v4, v11, v7, v4
	v_sub_co_u32 v5, vcc_lo, v5, v10
	v_sub_co_ci_u32_e32 v4, vcc_lo, v6, v4, vcc_lo
	s_waitcnt lgkmcnt(0)
	v_mul_lo_u32 v6, s1, v5
	v_mul_lo_u32 v4, s0, v4
	v_mad_u64_u32 v[1:2], null, s0, v5, v[1:2]
	v_cmp_ge_u64_e64 s0, s[16:17], s[10:11]
	s_and_b32 vcc_lo, exec_lo, s0
	v_add3_u32 v2, v6, v2, v4
	s_cbranch_vccnz .LBB0_9
; %bb.7:                                ;   in Loop: Header=BB0_2 Depth=1
	v_mov_b32_e32 v5, v8
	v_mov_b32_e32 v6, v9
	s_branch .LBB0_2
.LBB0_8:
	v_mov_b32_e32 v9, v6
	v_mov_b32_e32 v8, v5
.LBB0_9:
	s_lshl_b64 s[0:1], s[10:11], 3
	v_mul_hi_u32 v3, 0x226b903, v0
	s_add_u32 s0, s12, s0
	s_addc_u32 s1, s13, s1
                                        ; implicit-def: $vgpr24
                                        ; implicit-def: $vgpr29
                                        ; implicit-def: $vgpr23
                                        ; implicit-def: $vgpr30
                                        ; implicit-def: $vgpr22
                                        ; implicit-def: $vgpr27
                                        ; implicit-def: $vgpr21
                                        ; implicit-def: $vgpr28
                                        ; implicit-def: $vgpr20
                                        ; implicit-def: $vgpr26
                                        ; implicit-def: $vgpr19
                                        ; implicit-def: $vgpr25
                                        ; implicit-def: $vgpr18
                                        ; implicit-def: $vgpr17
                                        ; implicit-def: $vgpr31
                                        ; implicit-def: $vgpr16
                                        ; implicit-def: $vgpr32
                                        ; implicit-def: $vgpr14
                                        ; implicit-def: $vgpr33
                                        ; implicit-def: $vgpr13
                                        ; implicit-def: $vgpr34
                                        ; implicit-def: $vgpr6
                                        ; implicit-def: $vgpr39
                                        ; implicit-def: $vgpr38
                                        ; implicit-def: $vgpr11
                                        ; implicit-def: $vgpr37
                                        ; implicit-def: $vgpr12
                                        ; implicit-def: $vgpr36
                                        ; implicit-def: $vgpr15
                                        ; implicit-def: $vgpr35
	s_load_dwordx2 s[0:1], s[0:1], 0x0
	s_load_dwordx2 s[4:5], s[4:5], 0x20
	v_mul_u32_u24_e32 v3, 0x77, v3
	v_sub_nc_u32_e32 v7, v0, v3
	v_mov_b32_e32 v0, 0
	s_waitcnt lgkmcnt(0)
	v_mul_lo_u32 v4, s0, v9
	v_mul_lo_u32 v5, s1, v8
	v_mad_u64_u32 v[1:2], null, s0, v8, v[1:2]
	v_cmp_gt_u64_e32 vcc_lo, s[4:5], v[8:9]
	v_cmp_gt_u32_e64 s0, 0x54, v7
                                        ; implicit-def: $vgpr8
	s_and_b32 s1, vcc_lo, s0
	v_add3_u32 v2, v5, v2, v4
	v_mov_b32_e32 v4, 0
                                        ; implicit-def: $vgpr5
	v_lshlrev_b64 v[9:10], 2, v[1:2]
	s_and_saveexec_b32 s4, s1
	s_cbranch_execz .LBB0_11
; %bb.10:
	v_mov_b32_e32 v8, 0
	v_add_co_u32 v2, s1, s2, v9
	v_add_co_ci_u32_e64 v3, s1, s3, v10, s1
	v_lshlrev_b64 v[0:1], 2, v[7:8]
	v_add_co_u32 v2, s1, v2, v0
	v_add_co_ci_u32_e64 v3, s1, v3, v1, s1
	v_add_co_u32 v11, s1, 0x800, v2
	v_add_co_ci_u32_e64 v12, s1, 0, v3, s1
	v_add_co_u32 v1, s1, 0x1000, v2
	s_clause 0x7
	global_load_dword v0, v[2:3], off
	global_load_dword v29, v[2:3], off offset:336
	global_load_dword v30, v[2:3], off offset:672
	global_load_dword v27, v[2:3], off offset:1008
	global_load_dword v28, v[2:3], off offset:1344
	global_load_dword v26, v[2:3], off offset:1680
	global_load_dword v25, v[2:3], off offset:2016
	global_load_dword v5, v[11:12], off offset:304
	v_add_co_ci_u32_e64 v2, s1, 0, v3, s1
	s_clause 0x8
	global_load_dword v31, v[11:12], off offset:640
	global_load_dword v32, v[11:12], off offset:976
	;; [unrolled: 1-line block ×9, first 2 shown]
	s_waitcnt vmcnt(16)
	v_lshrrev_b32_e32 v4, 16, v0
	s_waitcnt vmcnt(15)
	v_lshrrev_b32_e32 v24, 16, v29
	;; [unrolled: 2-line block ×17, first 2 shown]
.LBB0_11:
	s_or_b32 exec_lo, exec_lo, s4
	v_sub_f16_e32 v42, v24, v6
	v_add_f16_e32 v63, v29, v39
	v_sub_f16_e32 v43, v23, v8
	v_add_f16_e32 v62, v30, v38
	v_sub_f16_e32 v45, v22, v11
	v_pk_mul_f16 v64, 0xbbf7bbb2, v42 op_sel_hi:[1,0]
	v_add_f16_e32 v59, v27, v37
	v_pk_mul_f16 v61, 0xb1e13836, v43 op_sel_hi:[1,0]
	v_sub_f16_e32 v44, v21, v12
	v_pk_mul_f16 v60, 0x3bb23964, v45 op_sel_hi:[1,0]
	v_pk_fma_f16 v1, 0x2de8b461, v63, v64 op_sel_hi:[1,0,1] neg_lo:[0,0,1] neg_hi:[0,0,1]
	v_add_f16_e32 v57, v28, v36
	v_pk_fma_f16 v2, 0xbbddbacd, v62, v61 op_sel_hi:[1,0,1] neg_lo:[0,0,1] neg_hi:[0,0,1]
	v_sub_f16_e32 v41, v20, v15
	v_pk_mul_f16 v58, 0x35c8bb29, v44 op_sel_hi:[1,0]
	v_pk_add_f16 v1, v0, v1 op_sel_hi:[0,1]
	v_pk_fma_f16 v3, 0xb46139e9, v59, v60 op_sel_hi:[1,0,1] neg_lo:[0,0,1] neg_hi:[0,0,1]
	v_add_f16_e32 v55, v26, v35
	v_sub_f16_e32 v40, v19, v13
	v_pk_mul_f16 v56, 0xbb29b1e1, v41 op_sel_hi:[1,0]
	v_pk_add_f16 v1, v1, v2
	v_pk_fma_f16 v2, 0x3b763722, v57, v58 op_sel_hi:[1,0,1] neg_lo:[0,0,1] neg_hi:[0,0,1]
	v_add_f16_e32 v53, v25, v34
	v_pk_mul_f16 v54, 0xb8363bf7, v40 op_sel_hi:[1,0]
	v_pk_fma_f16 v46, 0x3722bbdd, v55, v56 op_sel_hi:[1,0,1] neg_lo:[0,0,1] neg_hi:[0,0,1]
	v_pk_add_f16 v3, v1, v3
	v_sub_f16_e32 v1, v18, v14
	v_add_f16_e32 v51, v5, v33
	v_pk_fma_f16 v47, 0xbacd2de8, v53, v54 op_sel_hi:[1,0,1] neg_lo:[0,0,1] neg_hi:[0,0,1]
	v_add_f16_e32 v50, v31, v32
	v_pk_add_f16 v2, v3, v2
	v_pk_mul_f16 v52, 0x3a62b5c8, v1 op_sel_hi:[1,0]
	v_sub_f16_e32 v3, v17, v16
	v_pk_add_f16 v2, v2, v46
	v_pk_fma_f16 v46, 0xb8d23b76, v51, v52 op_sel_hi:[1,0,1] neg_lo:[0,0,1] neg_hi:[0,0,1]
	v_pk_mul_f16 v49, 0x3964ba62, v3 op_sel_hi:[1,0]
	v_pk_add_f16 v2, v47, v2
	v_pk_add_f16 v2, v46, v2
	v_pk_fma_f16 v46, 0x39e9b8d2, v50, v49 op_sel_hi:[1,0,1] neg_lo:[0,0,1] neg_hi:[0,0,1]
	v_pk_add_f16 v2, v46, v2
	s_and_saveexec_b32 s1, s0
	s_cbranch_execz .LBB0_13
; %bb.12:
	v_mul_f16_e32 v47, 0xbbdd, v63
	v_mul_f16_e32 v46, 0x3b76, v62
	v_pack_b32_f16 v65, v63, v63
	v_mul_f16_e32 v48, 0xbacd, v59
	v_pack_b32_f16 v66, v42, v42
	v_fmamk_f16 v67, v42, 0xb1e1, v47
	v_fmamk_f16 v71, v43, 0x35c8, v46
	v_pack_b32_f16 v68, v62, v62
	v_pack_b32_f16 v69, v43, v43
	v_mul_f16_e32 v70, 0x39e9, v57
	v_add_f16_e32 v67, v0, v67
	v_fmamk_f16 v73, v45, 0xb836, v48
	v_pk_mul_f16 v74, 0xbacdb8d2, v65
	v_pk_mul_f16 v75, 0xb836ba62, v66
	v_pk_mul_f16 v90, 0x2de8b461, v63 op_sel_hi:[1,0]
	v_add_f16_e32 v67, v67, v71
	v_mul_f16_e32 v72, 0xb8d2, v55
	v_pk_mul_f16 v71, 0x3722b461, v68
	v_pk_mul_f16 v76, 0x3b293bb2, v69
	v_fmamk_f16 v77, v44, 0x3964, v70
	v_sub_f16_e32 v78, v74, v75
	v_add_f16_e32 v67, v67, v73
	v_add_f16_e32 v93, v64, v90
	v_pk_mul_f16 v94, 0xbbddbacd, v62 op_sel_hi:[1,0]
	v_pack_b32_f16 v73, v59, v59
	v_fmamk_f16 v79, v41, 0xba62, v72
	v_sub_f16_e32 v80, v71, v76
	v_add_f16_e32 v78, v0, v78
	v_add_f16_e32 v67, v67, v77
	v_pack_b32_f16 v77, v45, v45
	v_mul_f16_e32 v81, 0x3722, v53
	v_add_f16_e32 v93, v0, v93
	v_add_f16_e32 v98, v61, v94
	v_pk_mul_f16 v99, 0xb46139e9, v59 op_sel_hi:[1,0]
	v_pk_mul_f16 v65, 0x39e93b76, v65
	v_pk_mul_f16 v107, 0xb964b5c8, v66
	;; [unrolled: 1-line block ×3, first 2 shown]
	v_add_f16_e32 v78, v78, v80
	v_add_f16_e32 v67, v67, v79
	v_pk_mul_f16 v79, 0xbbf7b5c8, v77
	v_fmamk_f16 v80, v40, 0x3b29, v81
	v_mul_f16_e32 v83, 0xb461, v51
	v_pack_b32_f16 v84, v57, v57
	v_pack_b32_f16 v85, v44, v44
	v_add_f16_e32 v93, v93, v98
	v_add_f16_e32 v98, v60, v99
	v_pk_mul_f16 v103, 0x3b763722, v57 op_sel_hi:[1,0]
	v_pk_mul_f16 v68, 0x2de839e9, v68
	v_sub_f16_e32 v111, v65, v107
	v_pk_mul_f16 v112, 0xbbf7b964, v69
	v_sub_f16_e32 v86, v82, v79
	v_add_f16_e32 v67, v80, v67
	v_fmamk_f16 v80, v1, 0xbbb2, v83
	v_pk_mul_f16 v87, 0xb8d2bacd, v84
	v_pk_mul_f16 v88, 0x3a62b836, v85
	v_add_f16_e32 v93, v93, v98
	v_add_f16_e32 v98, v58, v103
	v_pk_mul_f16 v105, 0x3722bbdd, v55 op_sel_hi:[1,0]
	v_add_f16_e32 v111, v0, v111
	v_sub_f16_e32 v114, v68, v112
	v_pk_mul_f16 v73, 0xb8d23722, v73
	v_pk_mul_f16 v115, 0xba62bb29, v77
	v_add_f16_e32 v78, v78, v86
	v_add_f16_e32 v67, v80, v67
	v_sub_f16_e32 v80, v87, v88
	v_pack_b32_f16 v89, v55, v55
	v_pack_b32_f16 v92, v41, v41
	v_add_f16_e32 v93, v93, v98
	v_add_f16_e32 v98, v56, v105
	v_pk_mul_f16 v108, 0xbacd2de8, v53 op_sel_hi:[1,0]
	v_add_f16_e32 v111, v111, v114
	v_sub_f16_e32 v114, v73, v115
	v_pk_mul_f16 v84, 0xbbdd2de8, v84
	v_pk_mul_f16 v119, 0xb1e1bbf7, v85
	v_mul_f16_e32 v86, 0x2de8, v50
	v_add_f16_e32 v78, v78, v80
	v_pk_mul_f16 v80, 0x3b762de8, v89
	v_pack_b32_f16 v96, v53, v53
	v_pack_b32_f16 v97, v40, v40
	v_add_f16_e32 v93, v93, v98
	v_add_f16_e32 v98, v54, v108
	v_pk_mul_f16 v116, 0xb8d23b76, v51 op_sel_hi:[1,0]
	v_add_f16_e32 v111, v111, v114
	v_sub_f16_e32 v114, v84, v119
	v_pk_mul_f16 v89, 0xbacdb461, v89
	v_pk_mul_f16 v121, 0x3836bbb2, v92
	v_fmamk_f16 v91, v3, 0x3bf7, v86
	v_pk_mul_f16 v101, 0xbbdd39e9, v96
	v_add_f16_e32 v93, v98, v93
	v_add_f16_e32 v98, v52, v116
	v_pk_mul_f16 v122, 0x39e9b8d2, v50 op_sel_hi:[1,0]
	v_add_f16_e32 v111, v111, v114
	v_sub_f16_e32 v114, v89, v121
	v_pk_mul_f16 v96, 0xb461b8d2, v96
	v_pk_mul_f16 v123, 0x3bb2ba62, v97
	v_add_f16_e32 v93, v98, v93
	v_add_f16_e32 v98, v49, v122
	;; [unrolled: 1-line block ×4, first 2 shown]
	v_sub_f16_e32 v111, v96, v123
	v_pk_fma_f16 v114, 0xb964b5c8, v66, v65
	v_add_f16_e32 v93, v98, v93
	v_perm_b32 v98, v0, v0, 0x5040100
	v_mul_f16_e32 v63, 0x3722, v63
	v_add_f16_e32 v91, v111, v91
	v_mul_f16_e32 v111, 0xbb29, v42
	v_pk_fma_f16 v124, 0xbbf7b964, v69, v68
	v_pk_add_f16 v114, v98, v114
	v_mul_f16_e32 v125, 0xba62, v43
	v_mul_f16_e32 v62, 0xb8d2, v62
	v_bfi_b32 v64, 0xffff, v111, v64
	v_bfi_b32 v90, 0xffff, v63, v90
	v_pk_add_f16 v114, v114, v124
	v_pk_fma_f16 v124, 0xba62bb29, v77, v73
	v_bfi_b32 v61, 0xffff, v125, v61
	v_bfi_b32 v94, 0xffff, v62, v94
	v_pk_add_f16 v64, v64, v90
	v_mul_f16_e32 v90, 0x31e1, v45
	v_mul_f16_e32 v59, 0xbbdd, v59
	v_pk_add_f16 v114, v114, v124
	v_pk_add_f16 v61, v61, v94
	;; [unrolled: 1-line block ×3, first 2 shown]
	v_bfi_b32 v60, 0xffff, v90, v60
	v_bfi_b32 v94, 0xffff, v59, v99
	v_pk_fma_f16 v99, 0xb1e1bbf7, v85, v84
	v_mul_f16_e32 v124, 0x3bb2, v44
	v_mul_f16_e32 v57, 0xb461, v57
	v_pk_mul_f16 v95, 0xb5c83bf7, v92
	v_pk_add_f16 v61, v64, v61
	v_pk_add_f16 v60, v60, v94
	;; [unrolled: 1-line block ×3, first 2 shown]
	v_bfi_b32 v58, 0xffff, v124, v58
	v_bfi_b32 v94, 0xffff, v57, v103
	v_pk_fma_f16 v99, 0x3836bbb2, v92, v89
	v_mul_f16_e32 v103, 0x3964, v41
	v_mul_f16_e32 v55, 0x39e9, v55
	v_sub_f16_e32 v100, v80, v95
	v_pk_mul_f16 v102, 0xb1e1b964, v97
	v_pk_add_f16 v60, v61, v60
	v_pk_add_f16 v58, v58, v94
	;; [unrolled: 1-line block ×3, first 2 shown]
	v_bfi_b32 v56, 0xffff, v103, v56
	v_bfi_b32 v64, 0xffff, v55, v105
	v_mul_f16_e32 v94, 0xb5c8, v40
	v_mul_f16_e32 v53, 0x3b76, v53
	v_add_f16_e32 v78, v78, v100
	v_sub_f16_e32 v100, v101, v102
	v_pack_b32_f16 v104, v51, v51
	v_pk_add_f16 v58, v60, v58
	v_pk_add_f16 v56, v56, v64
	v_bfi_b32 v54, 0xffff, v94, v54
	v_bfi_b32 v64, 0xffff, v53, v108
	v_add_f16_e32 v78, v100, v78
	v_pack_b32_f16 v100, v1, v1
	v_pk_mul_f16 v106, 0x39e9bbdd, v104
	v_pk_mul_f16 v104, 0x3722bacd, v104
	v_pk_fma_f16 v60, 0x3bb2ba62, v97, v96
	v_pk_add_f16 v56, v58, v56
	v_pk_add_f16 v54, v54, v64
	v_add_f16_e32 v0, v0, v29
	v_pk_fma_f16 v58, 0x3b29b836, v100, v104
	v_pk_add_f16 v60, v60, v61
	v_mul_f16_e32 v61, 0xbbf7, v1
	v_mul_f16_e32 v51, 0x2de8, v51
	v_pk_add_f16 v54, v54, v56
	v_pk_fma_f16 v56, 0xb836ba62, v66, v74
	v_add_f16_e32 v0, v0, v30
	v_pk_add_f16 v58, v58, v60
	v_bfi_b32 v52, 0xffff, v61, v52
	v_bfi_b32 v60, 0xffff, v51, v116
	v_pk_add_f16 v56, v98, v56
	v_pk_fma_f16 v69, 0x3b293bb2, v69, v71
	v_add_f16_e32 v0, v0, v27
	v_mul_f16_e32 v42, 0xb1e1, v42
	v_pk_add_f16 v52, v52, v60
	v_mul_f16_e32 v43, 0x35c8, v43
	v_pk_add_f16 v56, v56, v69
	v_pk_fma_f16 v69, 0xbbf7b5c8, v77, v82
	v_add_f16_e32 v0, v0, v28
	v_pk_add_f16 v52, v52, v54
	v_bfi_b32 v47, 0xffff, v47, v74
	v_bfi_b32 v42, 0xffff, v42, v75
	v_pk_add_f16 v54, v56, v69
	v_pk_fma_f16 v56, 0x3a62b836, v85, v87
	v_add_f16_e32 v0, v0, v26
	v_bfi_b32 v46, 0xffff, v46, v71
	v_bfi_b32 v43, 0xffff, v43, v76
	v_pk_add_f16 v42, v47, v42 neg_lo:[0,1] neg_hi:[0,1]
	v_pk_add_f16 v54, v54, v56
	v_pk_fma_f16 v47, 0xb5c83bf7, v92, v80
	v_mul_f16_e32 v45, 0xb836, v45
	v_add_f16_e32 v0, v0, v25
	v_pk_add_f16 v43, v46, v43 neg_lo:[0,1] neg_hi:[0,1]
	v_pk_add_f16 v42, v98, v42
	v_pk_add_f16 v46, v54, v47
	v_bfi_b32 v47, 0xffff, v48, v82
	v_bfi_b32 v45, 0xffff, v45, v79
	v_add_f16_e32 v0, v0, v5
	v_pk_add_f16 v42, v42, v43
	v_mul_f16_e32 v43, 0x3964, v44
	v_pk_fma_f16 v44, 0xb1e1b964, v97, v101
	v_pk_add_f16 v45, v47, v45 neg_lo:[0,1] neg_hi:[0,1]
	v_pk_mul_f16 v109, 0x3964b1e1, v100
	v_pack_b32_f16 v110, v50, v50
	v_pack_b32_f16 v113, v3, v3
	v_add_f16_e32 v0, v0, v31
	v_bfi_b32 v47, 0xffff, v70, v87
	v_bfi_b32 v43, 0xffff, v43, v88
	v_pk_add_f16 v44, v44, v46
	v_pk_add_f16 v42, v42, v45
	v_bfi_b32 v45, 0xffff, v63, v65
	v_mul_f16_e32 v41, 0xba62, v41
	v_bfi_b32 v46, 0xffff, v111, v107
	v_sub_f16_e32 v117, v106, v109
	v_pk_mul_f16 v118, 0xb4613722, v110
	v_pk_mul_f16 v120, 0xbbb23b29, v113
	v_add_f16_e32 v0, v0, v32
	v_pk_add_f16 v43, v47, v43 neg_lo:[0,1] neg_hi:[0,1]
	v_bfi_b32 v47, 0xffff, v72, v80
	v_bfi_b32 v41, 0xffff, v41, v95
	v_pk_add_f16 v45, v45, v46 neg_lo:[0,1] neg_hi:[0,1]
	v_bfi_b32 v46, 0xffff, v62, v68
	v_bfi_b32 v48, 0xffff, v125, v112
	v_add_f16_e32 v78, v117, v78
	v_sub_f16_e32 v117, v118, v120
	v_add_f16_e32 v0, v0, v33
	v_pk_add_f16 v41, v47, v41 neg_lo:[0,1] neg_hi:[0,1]
	v_pk_add_f16 v45, v98, v45
	v_pk_add_f16 v46, v46, v48 neg_lo:[0,1] neg_hi:[0,1]
	v_mul_f16_e32 v40, 0x3b29, v40
	v_bfi_b32 v47, 0xffff, v59, v73
	v_bfi_b32 v48, 0xffff, v90, v115
	v_add_f16_e32 v78, v117, v78
	v_pk_mul_f16 v117, 0x3b29b836, v100
	v_add_f16_e32 v0, v0, v34
	v_pk_add_f16 v42, v42, v43
	v_bfi_b32 v43, 0xffff, v81, v101
	v_bfi_b32 v40, 0xffff, v40, v102
	v_pk_add_f16 v45, v45, v46
	v_pk_add_f16 v46, v47, v48 neg_lo:[0,1] neg_hi:[0,1]
	v_bfi_b32 v47, 0xffff, v57, v84
	v_bfi_b32 v48, 0xffff, v124, v119
	v_mul_f16_e32 v1, 0xbbb2, v1
	v_sub_f16_e32 v99, v104, v117
	v_add_f16_e32 v0, v0, v35
	v_pk_add_f16 v41, v42, v41
	v_pk_add_f16 v40, v43, v40 neg_lo:[0,1] neg_hi:[0,1]
	v_pk_add_f16 v42, v45, v46
	v_pk_add_f16 v43, v47, v48 neg_lo:[0,1] neg_hi:[0,1]
	v_bfi_b32 v46, 0xffff, v55, v89
	v_bfi_b32 v48, 0xffff, v103, v121
	;; [unrolled: 1-line block ×4, first 2 shown]
	v_add_f16_e32 v64, v99, v91
	v_mul_f16_e32 v50, 0xbacd, v50
	v_mul_f16_e32 v91, 0xb836, v3
	v_add_f16_e32 v0, v36, v0
	v_mul_f16_e32 v3, 0x3bf7, v3
	v_pk_add_f16 v42, v42, v43
	v_pk_add_f16 v43, v46, v48 neg_lo:[0,1] neg_hi:[0,1]
	v_bfi_b32 v46, 0xffff, v53, v96
	v_bfi_b32 v48, 0xffff, v94, v123
	v_pk_add_f16 v40, v40, v41
	v_pk_add_f16 v1, v55, v1 neg_lo:[0,1] neg_hi:[0,1]
	v_pk_mul_f16 v66, 0x3b76bbdd, v110
	v_bfi_b32 v49, 0xffff, v91, v49
	v_bfi_b32 v99, 0xffff, v50, v122
	v_add_f16_e32 v0, v37, v0
	v_pk_fma_f16 v54, 0x3964b1e1, v100, v106
	v_pk_mul_f16 v45, 0x35c8b1e1, v113
	v_pk_add_f16 v41, v42, v43
	v_pk_add_f16 v42, v46, v48 neg_lo:[0,1] neg_hi:[0,1]
	v_bfi_b32 v43, 0xffff, v51, v104
	v_bfi_b32 v46, 0xffff, v61, v117
	v_pk_add_f16 v1, v1, v40
	v_bfi_b32 v40, 0xffff, v86, v118
	v_bfi_b32 v3, 0xffff, v3, v120
	v_pk_fma_f16 v60, 0x35c8b1e1, v113, v66
	v_pk_add_f16 v49, v49, v99
	v_add_f16_e32 v0, v38, v0
	v_pk_add_f16 v44, v54, v44
	v_sub_f16_e32 v47, v66, v45
	v_pk_fma_f16 v53, 0xbbb23b29, v113, v118
	v_pk_add_f16 v41, v42, v41
	v_pk_add_f16 v42, v43, v46 neg_lo:[0,1] neg_hi:[0,1]
	v_bfi_b32 v46, 0xffff, v50, v66
	v_bfi_b32 v45, 0xffff, v91, v45
	v_pk_add_f16 v3, v40, v3 neg_lo:[0,1] neg_hi:[0,1]
	v_pk_add_f16 v58, v60, v58
	v_add_f16_e32 v0, v39, v0
	v_pk_add_f16 v40, v49, v52
	v_pk_add_f16 v43, v53, v44
	;; [unrolled: 1-line block ×3, first 2 shown]
	v_pk_add_f16 v45, v46, v45 neg_lo:[0,1] neg_hi:[0,1]
	v_pk_add_f16 v46, v3, v1
	v_mad_u32_u24 v54, v7, 34, 0
	v_alignbit_b32 v42, v93, v40, 16
	v_alignbit_b32 v41, v40, v58, 16
	v_pack_b32_f16 v40, v0, v58
	v_pk_add_f16 v3, v45, v44
	v_alignbit_b32 v1, v78, v46, 16
	v_pack_b32_f16 v0, v67, v46
	v_add_f16_e32 v44, v47, v64
	ds_write_b128 v54, v[40:43]
	ds_write_b128 v54, v[0:3] offset:16
	ds_write_b16 v54, v44 offset:32
.LBB0_13:
	s_or_b32 exec_lo, exec_lo, s1
	v_sub_f16_e32 v57, v29, v39
	v_add_f16_e32 v51, v24, v6
	v_sub_f16_e32 v55, v30, v38
	v_add_f16_e32 v50, v23, v8
	v_sub_f16_e32 v58, v27, v37
	v_pk_mul_f16 v43, 0xbbf7bbb2, v57 op_sel_hi:[1,0]
	v_add_f16_e32 v48, v22, v11
	v_pk_mul_f16 v42, 0xb1e13836, v55 op_sel_hi:[1,0]
	v_sub_f16_e32 v56, v28, v36
	v_pk_mul_f16 v41, 0x3bb23964, v58 op_sel_hi:[1,0]
	v_pk_fma_f16 v0, 0x2de8b461, v51, v43 op_sel_hi:[1,0,1]
	v_add_f16_e32 v52, v21, v12
	v_pk_fma_f16 v1, 0xbbddbacd, v50, v42 op_sel_hi:[1,0,1]
	v_pk_mul_f16 v40, 0x35c8bb29, v56 op_sel_hi:[1,0]
	v_pk_fma_f16 v3, 0xb46139e9, v48, v41 op_sel_hi:[1,0,1]
	v_pk_add_f16 v0, v4, v0 op_sel_hi:[0,1]
	v_sub_f16_e32 v46, v5, v33
	v_sub_f16_e32 v54, v26, v35
	v_pk_fma_f16 v5, 0x3b763722, v52, v40 op_sel_hi:[1,0,1]
	v_add_f16_e32 v53, v20, v15
	v_pk_add_f16 v0, v0, v1
	v_sub_f16_e32 v49, v25, v34
	v_pk_mul_f16 v39, 0xbb29b1e1, v54 op_sel_hi:[1,0]
	v_sub_f16_e32 v1, v31, v32
	s_waitcnt lgkmcnt(0)
	v_pk_add_f16 v0, v0, v3
	s_barrier
	buffer_gl0_inv
	v_add_f16_e32 v47, v19, v13
	v_pk_mul_f16 v44, 0xb8363bf7, v49 op_sel_hi:[1,0]
	v_pk_add_f16 v5, v0, v5
	v_lshl_add_u32 v0, v7, 1, 0
	v_pk_fma_f16 v3, 0x3722bbdd, v53, v39 op_sel_hi:[1,0,1]
	v_add_f16_e32 v45, v18, v14
	v_pk_mul_f16 v38, 0x3a62b5c8, v46 op_sel_hi:[1,0]
	ds_read_u16 v25, v0 offset:1666
	ds_read_u16 v36, v0
	ds_read_u16 v31, v0 offset:238
	ds_read_u16 v32, v0 offset:476
	;; [unrolled: 1-line block ×10, first 2 shown]
	v_pk_fma_f16 v37, 0xbacd2de8, v47, v44 op_sel_hi:[1,0,1]
	v_pk_add_f16 v5, v5, v3
	v_add_f16_e32 v3, v17, v16
	v_pk_fma_f16 v59, 0xb8d23b76, v45, v38 op_sel_hi:[1,0,1]
	s_waitcnt lgkmcnt(0)
	s_barrier
	v_pk_add_f16 v5, v37, v5
	v_pk_mul_f16 v37, 0x3964ba62, v1 op_sel_hi:[1,0]
	buffer_gl0_inv
	v_pk_add_f16 v5, v59, v5
	v_pk_fma_f16 v59, 0x39e9b8d2, v3, v37 op_sel_hi:[1,0,1]
	v_pk_add_f16 v5, v59, v5
	s_and_saveexec_b32 s1, s0
	s_cbranch_execz .LBB0_15
; %bb.14:
	v_add_f16_e32 v24, v4, v24
	v_pack_b32_f16 v59, v51, v51
	v_pk_mul_f16 v72, 0x2de8b461, v51 op_sel_hi:[1,0]
	v_mul_f16_e32 v78, 0x3722, v51
	v_mul_f16_e32 v80, 0xbbdd, v51
	v_add_f16_e32 v23, v24, v23
	v_pack_b32_f16 v60, v57, v57
	v_pack_b32_f16 v62, v50, v50
	v_pk_mul_f16 v73, 0xbbddbacd, v50 op_sel_hi:[1,0]
	v_mul_f16_e32 v79, 0xbb29, v57
	v_add_f16_e32 v22, v23, v22
	v_mul_f16_e32 v82, 0x3b76, v50
	v_pack_b32_f16 v24, v55, v55
	v_pack_b32_f16 v63, v48, v48
	;; [unrolled: 1-line block ×3, first 2 shown]
	v_add_f16_e32 v21, v22, v21
	v_pk_mul_f16 v74, 0xb46139e9, v48 op_sel_hi:[1,0]
	v_mul_f16_e32 v81, 0xba62, v55
	v_mul_f16_e32 v84, 0xbacd, v48
	;; [unrolled: 1-line block ×3, first 2 shown]
	v_add_f16_e32 v20, v21, v20
	v_mul_f16_e32 v56, 0x3964, v56
	v_pack_b32_f16 v64, v58, v58
	v_pack_b32_f16 v65, v52, v52
	v_mul_f16_e32 v83, 0x31e1, v58
	v_add_f16_e32 v19, v20, v19
	v_pk_mul_f16 v20, 0x3b763722, v52 op_sel_hi:[1,0]
	v_pack_b32_f16 v66, v53, v53
	v_pk_mul_f16 v75, 0x3722bbdd, v53 op_sel_hi:[1,0]
	v_perm_b32 v61, v4, v4, 0x5040100
	v_add_f16_e32 v18, v19, v18
	v_pack_b32_f16 v67, v54, v54
	v_mul_f16_e32 v86, 0x3964, v54
	v_pk_mul_f16 v87, 0xbbf7b964, v24
	v_pk_mul_f16 v91, 0xb8d23722, v63
	v_add_f16_e32 v17, v18, v17
	v_mul_f16_e32 v18, 0xb1e1, v57
	v_mul_f16_e32 v57, 0xb8d2, v50
	v_pk_fma_f16 v90, 0x2de839e9, v62, v87 neg_lo:[0,0,1] neg_hi:[0,0,1]
	v_pk_mul_f16 v92, 0xba62bb29, v64
	v_add_f16_e32 v16, v17, v16
	v_mul_f16_e32 v17, 0x35c8, v55
	v_fma_f16 v51, v51, 0xbbdd, -v18
	v_mul_f16_e32 v55, 0xbbdd, v48
	v_pack_b32_f16 v22, v49, v49
	v_add_f16_e32 v14, v16, v14
	v_mul_f16_e32 v16, 0xb836, v58
	v_fma_f16 v50, v50, 0x3b76, -v17
	v_add_f16_e32 v51, v4, v51
	v_mul_f16_e32 v58, 0xb461, v52
	v_add_f16_e32 v13, v14, v13
	v_fma_f16 v48, v48, 0xbacd, -v16
	v_mul_f16_e32 v14, 0x39e9, v52
	v_add_f16_e32 v50, v51, v50
	v_mul_f16_e32 v51, 0xba62, v54
	v_add_f16_e32 v13, v13, v15
	v_fma_f16 v52, v52, 0x39e9, -v56
	v_mul_f16_e32 v15, 0x39e9, v53
	v_add_f16_e32 v48, v50, v48
	v_fma_f16 v50, v53, 0xb8d2, -v51
	v_add_f16_e32 v12, v12, v13
	v_mul_f16_e32 v13, 0xb8d2, v53
	v_pk_mul_f16 v53, 0x39e93b76, v59
	v_add_f16_e32 v48, v48, v52
	v_pk_mul_f16 v54, 0x2de839e9, v62
	v_add_f16_e32 v11, v11, v12
	v_mul_f16_e32 v52, 0xb5c8, v49
	v_mul_f16_e32 v49, 0x3b29, v49
	v_add_f16_e32 v48, v48, v50
	v_add_f16_e32 v89, v54, v87
	;; [unrolled: 1-line block ×3, first 2 shown]
	v_pk_mul_f16 v11, 0xb964b5c8, v60
	v_pk_mul_f16 v93, 0xbbdd2de8, v65
	;; [unrolled: 1-line block ×3, first 2 shown]
	v_pack_b32_f16 v68, v47, v47
	v_add_f16_e32 v8, v6, v8
	v_add_f16_e32 v6, v53, v11
	v_pk_fma_f16 v50, 0x39e93b76, v59, v11 neg_lo:[0,0,1] neg_hi:[0,0,1]
	v_pack_b32_f16 v70, v46, v46
	v_pk_mul_f16 v76, 0xbacd2de8, v47 op_sel_hi:[1,0]
	v_mul_f16_e32 v12, 0x3b76, v47
	v_add_f16_e32 v6, v4, v6
	v_pk_add_f16 v50, v61, v50
	v_mul_f16_e32 v88, 0x3722, v47
	v_fma_f16 v47, v47, 0x3722, -v49
	v_mul_f16_e32 v95, 0xbbf7, v46
	v_add_f16_e32 v6, v6, v89
	v_pk_add_f16 v50, v50, v90
	v_add_f16_e32 v89, v91, v92
	v_pk_fma_f16 v90, 0xb8d23722, v63, v92 neg_lo:[0,0,1] neg_hi:[0,0,1]
	v_mul_f16_e32 v46, 0xbbb2, v46
	v_pk_mul_f16 v96, 0xbacdb461, v66
	v_pk_mul_f16 v97, 0x3836bbb2, v67
	v_add_f16_e32 v6, v6, v89
	v_pk_add_f16 v50, v50, v90
	v_add_f16_e32 v89, v93, v94
	v_pk_fma_f16 v90, 0xbbdd2de8, v65, v94 neg_lo:[0,0,1] neg_hi:[0,0,1]
	v_bfi_b32 v53, 0xffff, v78, v53
	v_bfi_b32 v11, 0xffff, v79, v11
	v_pack_b32_f16 v69, v45, v45
	v_pk_mul_f16 v77, 0xb8d23b76, v45 op_sel_hi:[1,0]
	v_add_f16_e32 v47, v47, v48
	v_mul_f16_e32 v48, 0x2de8, v45
	v_mul_f16_e32 v98, 0xb461, v45
	v_fma_f16 v45, v45, 0xb461, -v46
	v_add_f16_e32 v6, v6, v89
	v_pk_add_f16 v50, v50, v90
	v_add_f16_e32 v89, v96, v97
	v_pk_fma_f16 v90, 0xbacdb461, v66, v97 neg_lo:[0,0,1] neg_hi:[0,0,1]
	v_pk_mul_f16 v99, 0xb461b8d2, v68
	v_pk_mul_f16 v100, 0x3bb2ba62, v22
	v_pk_add_f16 v11, v53, v11
	v_bfi_b32 v53, 0xffff, v57, v54
	v_bfi_b32 v54, 0xffff, v81, v87
	v_add_f16_e32 v45, v45, v47
	v_add_f16_e32 v6, v6, v89
	v_pk_add_f16 v47, v50, v90
	v_add_f16_e32 v50, v99, v100
	v_pk_fma_f16 v87, 0xb461b8d2, v68, v100 neg_lo:[0,0,1] neg_hi:[0,0,1]
	v_pk_mul_f16 v89, 0x3722bacd, v69
	v_pk_mul_f16 v90, 0x3b29b836, v70
	v_pk_add_f16 v11, v61, v11
	v_pk_add_f16 v53, v53, v54
	v_bfi_b32 v54, 0xffff, v55, v91
	v_bfi_b32 v91, 0xffff, v83, v92
	v_pack_b32_f16 v21, v1, v1
	v_add_f16_e32 v6, v50, v6
	v_pk_add_f16 v47, v87, v47
	v_add_f16_e32 v50, v89, v90
	v_pk_add_f16 v11, v11, v53
	v_pk_add_f16 v53, v54, v91
	v_bfi_b32 v54, 0xffff, v58, v93
	v_bfi_b32 v87, 0xffff, v85, v94
	v_pack_b32_f16 v71, v3, v3
	v_add_f16_e32 v50, v50, v6
	v_pk_fma_f16 v6, 0x3722bacd, v69, v90 neg_lo:[0,0,1] neg_hi:[0,0,1]
	v_pk_mul_f16 v91, 0x35c8b1e1, v21
	v_pk_add_f16 v11, v11, v53
	v_pk_add_f16 v53, v54, v87
	v_bfi_b32 v54, 0xffff, v15, v96
	v_bfi_b32 v87, 0xffff, v86, v97
	v_pk_add_f16 v6, v6, v47
	v_pk_fma_f16 v92, 0x3b76bbdd, v71, v91 neg_lo:[0,0,1] neg_hi:[0,0,1]
	v_pk_add_f16 v11, v11, v53
	v_bfi_b32 v78, 0xffff, v78, v72
	v_pk_add_f16 v53, v54, v87
	v_bfi_b32 v54, 0xffff, v12, v99
	v_bfi_b32 v87, 0xffff, v52, v100
	v_pk_add_f16 v92, v92, v6
	v_bfi_b32 v79, 0xffff, v79, v43
	v_pk_add_f16 v6, v11, v53
	;; [unrolled: 2-line block ×3, first 2 shown]
	v_bfi_b32 v54, 0xffff, v95, v90
	v_sub_f16_e32 v43, v72, v43
	v_bfi_b32 v15, 0xffff, v15, v75
	v_bfi_b32 v12, 0xffff, v12, v76
	v_pk_add_f16 v6, v11, v6
	v_pk_add_f16 v11, v53, v54
	v_pk_add_f16 v53, v78, v79 neg_lo:[0,1] neg_hi:[0,1]
	v_bfi_b32 v54, 0xffff, v57, v73
	v_bfi_b32 v57, 0xffff, v81, v42
	v_sub_f16_e32 v42, v73, v42
	v_pk_add_f16 v6, v11, v6
	v_add_f16_e32 v11, v4, v43
	v_pk_add_f16 v43, v61, v53
	v_pk_add_f16 v53, v54, v57 neg_lo:[0,1] neg_hi:[0,1]
	v_bfi_b32 v54, 0xffff, v55, v74
	v_bfi_b32 v55, 0xffff, v83, v41
	v_add_f16_e32 v11, v11, v42
	v_sub_f16_e32 v41, v74, v41
	v_pk_add_f16 v42, v43, v53
	v_bfi_b32 v53, 0xffff, v58, v20
	v_pk_add_f16 v43, v54, v55 neg_lo:[0,1] neg_hi:[0,1]
	v_bfi_b32 v54, 0xffff, v85, v40
	v_add_f16_e32 v11, v11, v41
	v_sub_f16_e32 v20, v20, v40
	v_pk_mul_f16 v24, 0x3b293bb2, v24
	v_pk_add_f16 v40, v42, v43
	v_pk_add_f16 v41, v53, v54 neg_lo:[0,1] neg_hi:[0,1]
	v_bfi_b32 v42, 0xffff, v86, v39
	v_add_f16_e32 v11, v11, v20
	v_sub_f16_e32 v20, v75, v39
	v_pk_mul_f16 v47, 0x3b76bbdd, v71
	v_pk_add_f16 v39, v40, v41
	;; [unrolled: 6-line block ×3, first 2 shown]
	v_pk_add_f16 v12, v12, v40 neg_lo:[0,1] neg_hi:[0,1]
	v_bfi_b32 v39, 0xffff, v48, v77
	v_bfi_b32 v40, 0xffff, v95, v38
	v_pk_mul_f16 v42, 0xb836ba62, v60
	v_add_f16_e32 v11, v20, v11
	v_sub_f16_e32 v20, v77, v38
	v_pk_add_f16 v12, v12, v15
	v_pk_add_f16 v15, v39, v40 neg_lo:[0,1] neg_hi:[0,1]
	v_add_f16_e32 v38, v41, v42
	v_pk_mul_f16 v39, 0x3722b461, v62
	v_add_f16_e32 v11, v20, v11
	v_mul_f16_e32 v94, 0xbacd, v3
	v_pk_add_f16 v12, v15, v12
	v_add_f16_e32 v4, v4, v38
	v_pk_fma_f16 v15, 0xbacdb8d2, v59, v42 neg_lo:[0,0,1] neg_hi:[0,0,1]
	v_add_f16_e32 v20, v39, v24
	v_mul_f16_e32 v87, 0xb836, v1
	v_pk_mul_f16 v40, 0xbbf7b5c8, v64
	v_bfi_b32 v41, 0xffff, v80, v41
	v_pk_add_f16 v15, v61, v15
	v_add_f16_e32 v4, v4, v20
	v_pk_fma_f16 v20, 0x3722b461, v62, v24 neg_lo:[0,0,1] neg_hi:[0,0,1]
	v_bfi_b32 v18, 0xffff, v18, v42
	v_add_f16_e32 v93, v47, v91
	v_bfi_b32 v47, 0xffff, v94, v47
	v_bfi_b32 v55, 0xffff, v87, v91
	v_pk_mul_f16 v38, 0x2de83b76, v63
	v_pk_mul_f16 v23, 0x3a62b836, v23
	v_pk_add_f16 v15, v15, v20
	v_pk_fma_f16 v20, 0x2de83b76, v63, v40 neg_lo:[0,0,1] neg_hi:[0,0,1]
	v_pk_add_f16 v18, v41, v18
	v_bfi_b32 v39, 0xffff, v82, v39
	v_bfi_b32 v17, 0xffff, v17, v24
	v_pk_add_f16 v43, v47, v55
	v_pk_mul_f16 v47, 0xb8d2bacd, v65
	v_pk_mul_f16 v53, 0xb5c83bf7, v67
	v_pk_add_f16 v15, v15, v20
	v_pk_fma_f16 v20, 0xb8d2bacd, v65, v23 neg_lo:[0,0,1] neg_hi:[0,0,1]
	v_pk_add_f16 v18, v61, v18
	v_pk_add_f16 v17, v39, v17
	v_bfi_b32 v24, 0xffff, v84, v38
	v_bfi_b32 v16, 0xffff, v16, v40
	v_add_f16_e32 v44, v38, v40
	v_pk_mul_f16 v52, 0x3b762de8, v66
	v_pk_add_f16 v15, v15, v20
	v_pk_fma_f16 v20, 0x3b762de8, v66, v53 neg_lo:[0,0,1] neg_hi:[0,0,1]
	v_pk_add_f16 v17, v18, v17
	v_pk_add_f16 v16, v24, v16
	v_bfi_b32 v14, 0xffff, v14, v47
	v_bfi_b32 v18, 0xffff, v56, v23
	v_add_f16_e32 v4, v4, v44
	v_add_f16_e32 v44, v47, v23
	v_pk_add_f16 v15, v15, v20
	v_pk_mul_f16 v20, 0xbbdd39e9, v68
	v_pk_mul_f16 v22, 0xb1e1b964, v22
	v_pk_add_f16 v16, v17, v16
	v_pk_add_f16 v14, v14, v18
	v_bfi_b32 v13, 0xffff, v13, v52
	v_bfi_b32 v17, 0xffff, v51, v53
	v_add_f16_e32 v4, v4, v44
	v_add_f16_e32 v44, v52, v53
	v_pk_mul_f16 v39, 0x39e9bbdd, v69
	v_pk_mul_f16 v40, 0x3964b1e1, v70
	v_pk_add_f16 v14, v16, v14
	v_pk_add_f16 v13, v13, v17
	v_bfi_b32 v16, 0xffff, v88, v20
	v_bfi_b32 v17, 0xffff, v49, v22
	v_pk_mul_f16 v19, 0x39e9b8d2, v3 op_sel_hi:[1,0]
	v_add_f16_e32 v4, v4, v44
	v_add_f16_e32 v38, v20, v22
	v_pk_fma_f16 v23, 0xbbdd39e9, v68, v22 neg_lo:[0,0,1] neg_hi:[0,0,1]
	v_pk_mul_f16 v20, 0xb4613722, v71
	v_pk_mul_f16 v21, 0xbbb23b29, v21
	v_pk_add_f16 v13, v14, v13
	v_pk_add_f16 v14, v16, v17
	v_bfi_b32 v16, 0xffff, v98, v39
	v_bfi_b32 v17, 0xffff, v46, v40
	v_mul_f16_e32 v22, 0x2de8, v3
	v_mul_f16_e32 v1, 0x3bf7, v1
	v_pk_add_f16 v6, v43, v6
	v_bfi_b32 v43, 0xffff, v94, v19
	v_bfi_b32 v48, 0xffff, v87, v37
	v_add_f16_e32 v4, v38, v4
	v_add_f16_e32 v24, v39, v40
	v_pk_add_f16 v13, v14, v13
	v_pk_add_f16 v14, v16, v17
	v_bfi_b32 v16, 0xffff, v22, v20
	v_bfi_b32 v17, 0xffff, v1, v21
	v_pk_add_f16 v43, v43, v48 neg_lo:[0,1] neg_hi:[0,1]
	v_sub_f16_e32 v18, v19, v37
	v_pk_add_f16 v15, v23, v15
	v_pk_fma_f16 v19, 0x39e9bbdd, v69, v40 neg_lo:[0,0,1] neg_hi:[0,0,1]
	v_add_f16_e32 v4, v24, v4
	v_add_f16_e32 v20, v20, v21
	v_fma_f16 v1, v3, 0x2de8, -v1
	v_pk_add_f16 v3, v14, v13
	v_pk_add_f16 v13, v16, v17
	;; [unrolled: 1-line block ×4, first 2 shown]
	v_pk_fma_f16 v19, 0xb4613722, v71, v21 neg_lo:[0,0,1] neg_hi:[0,0,1]
	v_add_f16_e32 v11, v18, v11
	v_add_f16_e32 v4, v20, v4
	;; [unrolled: 1-line block ×3, first 2 shown]
	v_pk_add_f16 v3, v13, v3
	v_pk_add_f16 v14, v19, v15
	v_lshl_add_u32 v15, v7, 5, v0
	v_alignbit_b32 v13, v11, v12, 16
	v_alignbit_b32 v12, v12, v92, 16
	v_pack_b32_f16 v11, v8, v92
	v_alignbit_b32 v4, v4, v3, 16
	v_pack_b32_f16 v3, v1, v3
	v_add_f16_e32 v1, v93, v50
	ds_write_b128 v15, v[11:14]
	ds_write_b128 v15, v[3:6] offset:16
	ds_write_b16 v15, v1 offset:32
.LBB0_15:
	s_or_b32 exec_lo, exec_lo, s1
	v_and_b32_e32 v3, 0xff, v7
	v_add_nc_u32_e32 v1, 0x77, v7
	v_add_nc_u32_e32 v4, 0xee, v7
	v_mov_b32_e32 v13, 0xf0f1
	v_add_nc_u32_e32 v11, 0x165, v7
	v_mul_lo_u16 v6, 0xf1, v3
	v_and_b32_e32 v8, 0xff, v1
	v_add_nc_u32_e32 v12, 0x1dc, v7
	v_add_nc_u32_e32 v3, 0x253, v7
	v_mul_u32_u24_sdwa v16, v4, v13 dst_sel:DWORD dst_unused:UNUSED_PAD src0_sel:WORD_0 src1_sel:DWORD
	v_lshrrev_b16 v14, 12, v6
	v_mul_lo_u16 v8, 0xf1, v8
	v_mul_u32_u24_sdwa v18, v11, v13 dst_sel:DWORD dst_unused:UNUSED_PAD src0_sel:WORD_0 src1_sel:DWORD
	v_mul_u32_u24_sdwa v19, v12, v13 dst_sel:DWORD dst_unused:UNUSED_PAD src0_sel:WORD_0 src1_sel:DWORD
	;; [unrolled: 1-line block ×3, first 2 shown]
	v_mul_lo_u16 v17, v14, 17
	v_lshrrev_b16 v20, 12, v8
	v_lshrrev_b32_e32 v16, 20, v16
	v_lshrrev_b32_e32 v18, 20, v18
	;; [unrolled: 1-line block ×4, first 2 shown]
	v_mov_b32_e32 v15, 2
	v_sub_nc_u16 v17, v7, v17
	v_mul_lo_u16 v22, v20, 17
	v_mul_lo_u16 v23, v16, 17
	;; [unrolled: 1-line block ×5, first 2 shown]
	v_lshlrev_b32_sdwa v21, v15, v17 dst_sel:DWORD dst_unused:UNUSED_PAD src0_sel:DWORD src1_sel:BYTE_0
	v_sub_nc_u16 v22, v1, v22
	v_sub_nc_u16 v4, v4, v23
	;; [unrolled: 1-line block ×5, first 2 shown]
	s_waitcnt lgkmcnt(0)
	s_barrier
	buffer_gl0_inv
	global_load_dword v39, v21, s[8:9]
	v_lshlrev_b32_sdwa v3, v15, v22 dst_sel:DWORD dst_unused:UNUSED_PAD src0_sel:DWORD src1_sel:BYTE_0
	v_lshlrev_b32_sdwa v11, v15, v4 dst_sel:DWORD dst_unused:UNUSED_PAD src0_sel:DWORD src1_sel:WORD_0
	v_lshlrev_b32_sdwa v21, v15, v51 dst_sel:DWORD dst_unused:UNUSED_PAD src0_sel:DWORD src1_sel:WORD_0
	;; [unrolled: 1-line block ×4, first 2 shown]
	s_clause 0x4
	global_load_dword v42, v3, s[8:9]
	global_load_dword v43, v11, s[8:9]
	;; [unrolled: 1-line block ×5, first 2 shown]
	ds_read_u16 v45, v0 offset:1666
	ds_read_u16 v3, v0
	ds_read_u16 v11, v0 offset:238
	ds_read_u16 v23, v0 offset:476
	;; [unrolled: 1-line block ×10, first 2 shown]
	v_mov_b32_e32 v15, 0x44
	v_mov_b32_e32 v21, 1
	v_mul_u32_u24_e32 v16, 0x44, v16
	v_mul_u32_u24_e32 v19, 0x44, v19
	;; [unrolled: 1-line block ×3, first 2 shown]
	v_mul_u32_u24_sdwa v14, v14, v15 dst_sel:DWORD dst_unused:UNUSED_PAD src0_sel:WORD_0 src1_sel:DWORD
	v_lshlrev_b32_sdwa v17, v21, v17 dst_sel:DWORD dst_unused:UNUSED_PAD src0_sel:DWORD src1_sel:BYTE_0
	v_lshlrev_b32_sdwa v4, v21, v4 dst_sel:DWORD dst_unused:UNUSED_PAD src0_sel:DWORD src1_sel:WORD_0
	v_lshlrev_b32_sdwa v12, v21, v12 dst_sel:DWORD dst_unused:UNUSED_PAD src0_sel:DWORD src1_sel:WORD_0
	v_mul_u32_u24_sdwa v15, v20, v15 dst_sel:DWORD dst_unused:UNUSED_PAD src0_sel:WORD_0 src1_sel:DWORD
	v_lshlrev_b32_sdwa v20, v21, v51 dst_sel:DWORD dst_unused:UNUSED_PAD src0_sel:DWORD src1_sel:WORD_0
	v_lshlrev_b32_sdwa v51, v21, v52 dst_sel:DWORD dst_unused:UNUSED_PAD src0_sel:DWORD src1_sel:WORD_0
	v_add3_u32 v55, 0, v14, v17
	v_lshlrev_b32_sdwa v14, v21, v22 dst_sel:DWORD dst_unused:UNUSED_PAD src0_sel:DWORD src1_sel:BYTE_0
	v_add3_u32 v54, 0, v16, v4
	v_add3_u32 v52, 0, v19, v12
	;; [unrolled: 1-line block ×3, first 2 shown]
	v_mul_u32_u24_e32 v18, 0x44, v18
	v_add3_u32 v56, 0, v15, v14
	s_waitcnt vmcnt(0) lgkmcnt(0)
	s_barrier
	buffer_gl0_inv
	v_add3_u32 v53, 0, v18, v20
	v_cmp_gt_u32_e64 s0, 0x55, v7
	v_mul_f16_sdwa v4, v46, v39 dst_sel:DWORD dst_unused:UNUSED_PAD src0_sel:DWORD src1_sel:WORD_1
	v_mul_f16_sdwa v12, v45, v42 dst_sel:DWORD dst_unused:UNUSED_PAD src0_sel:DWORD src1_sel:WORD_1
	;; [unrolled: 1-line block ×4, first 2 shown]
	v_fmac_f16_e32 v4, v30, v39
	v_mul_f16_sdwa v15, v47, v40 dst_sel:DWORD dst_unused:UNUSED_PAD src0_sel:DWORD src1_sel:WORD_1
	v_mul_f16_sdwa v16, v48, v41 dst_sel:DWORD dst_unused:UNUSED_PAD src0_sel:DWORD src1_sel:WORD_1
	v_fmac_f16_e32 v12, v25, v42
	v_fmac_f16_e32 v13, v29, v43
	;; [unrolled: 1-line block ×3, first 2 shown]
	v_sub_f16_e32 v17, v36, v4
	v_fmac_f16_e32 v15, v27, v40
	v_fmac_f16_e32 v16, v26, v41
	v_sub_f16_e32 v12, v31, v12
	v_sub_f16_e32 v19, v32, v13
	;; [unrolled: 1-line block ×3, first 2 shown]
	v_fma_f16 v18, v36, 2.0, -v17
	v_sub_f16_e32 v14, v34, v15
	v_sub_f16_e32 v13, v35, v16
	ds_write_b16 v55, v17 offset:34
	v_fma_f16 v17, v31, 2.0, -v12
	v_fma_f16 v20, v32, 2.0, -v19
	v_fma_f16 v21, v33, 2.0, -v4
	v_fma_f16 v16, v34, 2.0, -v14
	v_fma_f16 v15, v35, 2.0, -v13
	ds_write_b16 v55, v18
	ds_write_b16 v56, v12 offset:34
	ds_write_b16 v56, v17
	ds_write_b16 v54, v20
	ds_write_b16 v54, v19 offset:34
	ds_write_b16 v53, v21
	ds_write_b16 v53, v4 offset:34
	;; [unrolled: 2-line block ×4, first 2 shown]
	s_waitcnt lgkmcnt(0)
	s_barrier
	buffer_gl0_inv
	ds_read_u16 v12, v0
	ds_read_u16 v22, v0 offset:408
	ds_read_u16 v21, v0 offset:816
	;; [unrolled: 1-line block ×6, first 2 shown]
	s_and_saveexec_b32 s1, s0
	s_cbranch_execz .LBB0_17
; %bb.16:
	ds_read_u16 v2, v0 offset:2278
	ds_read_u16 v4, v0 offset:238
	;; [unrolled: 1-line block ×6, first 2 shown]
	s_waitcnt lgkmcnt(5)
	ds_read_u16_d16_hi v2, v0 offset:2686
.LBB0_17:
	s_or_b32 exec_lo, exec_lo, s1
	v_mul_f16_sdwa v30, v30, v39 dst_sel:DWORD dst_unused:UNUSED_PAD src0_sel:DWORD src1_sel:WORD_1
	v_mul_f16_sdwa v25, v25, v42 dst_sel:DWORD dst_unused:UNUSED_PAD src0_sel:DWORD src1_sel:WORD_1
	;; [unrolled: 1-line block ×5, first 2 shown]
	v_fma_f16 v30, v46, v39, -v30
	v_mul_f16_sdwa v26, v26, v41 dst_sel:DWORD dst_unused:UNUSED_PAD src0_sel:DWORD src1_sel:WORD_1
	v_fma_f16 v25, v45, v42, -v25
	v_fma_f16 v29, v49, v43, -v29
	;; [unrolled: 1-line block ×3, first 2 shown]
	v_sub_f16_e32 v34, v3, v30
	v_fma_f16 v27, v47, v40, -v27
	v_fma_f16 v26, v48, v41, -v26
	v_sub_f16_e32 v25, v11, v25
	v_sub_f16_e32 v29, v23, v29
	v_fma_f16 v35, v3, 2.0, -v34
	v_sub_f16_e32 v3, v24, v28
	v_sub_f16_e32 v30, v37, v27
	;; [unrolled: 1-line block ×3, first 2 shown]
	v_fma_f16 v11, v11, 2.0, -v25
	v_fma_f16 v23, v23, 2.0, -v29
	;; [unrolled: 1-line block ×5, first 2 shown]
	s_waitcnt lgkmcnt(0)
	s_barrier
	buffer_gl0_inv
	ds_write_b16 v55, v35
	ds_write_b16 v55, v34 offset:34
	ds_write_b16 v56, v11
	ds_write_b16 v56, v25 offset:34
	;; [unrolled: 2-line block ×6, first 2 shown]
	s_waitcnt lgkmcnt(0)
	s_barrier
	buffer_gl0_inv
	ds_read_u16 v11, v0
	ds_read_u16 v39, v0 offset:408
	ds_read_u16 v38, v0 offset:816
	;; [unrolled: 1-line block ×6, first 2 shown]
	s_and_saveexec_b32 s1, s0
	s_cbranch_execz .LBB0_19
; %bb.18:
	ds_read_u16 v5, v0 offset:2278
	ds_read_u16 v3, v0 offset:238
	;; [unrolled: 1-line block ×6, first 2 shown]
	s_waitcnt lgkmcnt(5)
	ds_read_u16_d16_hi v5, v0 offset:2686
.LBB0_19:
	s_or_b32 exec_lo, exec_lo, s1
	v_lshrrev_b16 v23, 13, v6
	v_mov_b32_e32 v24, 6
	v_mov_b32_e32 v46, 0x1dc
	;; [unrolled: 1-line block ×3, first 2 shown]
	v_lshrrev_b32_e32 v60, 16, v2
	v_mul_lo_u16 v6, v23, 34
	s_waitcnt lgkmcnt(0)
	v_lshrrev_b32_e32 v61, 16, v5
	v_mul_u32_u24_sdwa v23, v23, v46 dst_sel:DWORD dst_unused:UNUSED_PAD src0_sel:WORD_0 src1_sel:DWORD
	v_sub_nc_u16 v25, v7, v6
	v_lshrrev_b16 v6, 13, v8
	v_mul_u32_u24_sdwa v8, v25, v24 dst_sel:DWORD dst_unused:UNUSED_PAD src0_sel:BYTE_0 src1_sel:DWORD
	v_mul_lo_u16 v26, v6, 34
	v_lshlrev_b32_e32 v27, 2, v8
	v_sub_nc_u16 v8, v1, v26
	global_load_dwordx4 v[48:51], v27, s[8:9] offset:68
	v_mul_u32_u24_sdwa v24, v8, v24 dst_sel:DWORD dst_unused:UNUSED_PAD src0_sel:BYTE_0 src1_sel:DWORD
	v_lshlrev_b32_e32 v24, 2, v24
	s_clause 0x2
	global_load_dwordx2 v[56:57], v27, s[8:9] offset:84
	global_load_dwordx4 v[52:55], v24, s[8:9] offset:68
	global_load_dwordx2 v[58:59], v24, s[8:9] offset:84
	v_lshlrev_b32_sdwa v24, v47, v25 dst_sel:DWORD dst_unused:UNUSED_PAD src0_sel:DWORD src1_sel:BYTE_0
	s_waitcnt vmcnt(0)
	s_barrier
	buffer_gl0_inv
	v_add3_u32 v23, 0, v23, v24
	v_mul_f16_sdwa v41, v39, v48 dst_sel:DWORD dst_unused:UNUSED_PAD src0_sel:DWORD src1_sel:WORD_1
	v_mul_f16_sdwa v40, v38, v49 dst_sel:DWORD dst_unused:UNUSED_PAD src0_sel:DWORD src1_sel:WORD_1
	;; [unrolled: 1-line block ×7, first 2 shown]
	v_fmac_f16_e32 v41, v22, v48
	v_mul_f16_sdwa v44, v35, v56 dst_sel:DWORD dst_unused:UNUSED_PAD src0_sel:DWORD src1_sel:WORD_1
	v_mul_f16_sdwa v45, v34, v57 dst_sel:DWORD dst_unused:UNUSED_PAD src0_sel:DWORD src1_sel:WORD_1
	;; [unrolled: 1-line block ×7, first 2 shown]
	v_fmac_f16_e32 v40, v21, v49
	v_fmac_f16_e32 v44, v18, v56
	;; [unrolled: 1-line block ×3, first 2 shown]
	v_mul_f16_sdwa v62, v22, v48 dst_sel:DWORD dst_unused:UNUSED_PAD src0_sel:DWORD src1_sel:WORD_1
	v_mul_f16_sdwa v67, v17, v57 dst_sel:DWORD dst_unused:UNUSED_PAD src0_sel:DWORD src1_sel:WORD_1
	;; [unrolled: 1-line block ×7, first 2 shown]
	v_fma_f16 v38, v38, v49, -v63
	v_fmac_f16_e32 v42, v20, v50
	v_fma_f16 v37, v37, v50, -v64
	v_fmac_f16_e32 v43, v19, v51
	v_fma_f16 v19, v36, v51, -v65
	v_fma_f16 v18, v35, v56, -v66
	;; [unrolled: 1-line block ×4, first 2 shown]
	v_fmac_f16_e32 v28, v2, v58
	v_fma_f16 v31, v5, v58, -v72
	v_add_f16_e32 v2, v41, v45
	v_add_f16_e32 v5, v40, v44
	v_fma_f16 v39, v39, v48, -v62
	v_fma_f16 v17, v34, v57, -v67
	v_mul_f16_sdwa v68, v16, v52 dst_sel:DWORD dst_unused:UNUSED_PAD src0_sel:DWORD src1_sel:WORD_1
	v_fmac_f16_e32 v25, v16, v52
	v_fmac_f16_e32 v24, v14, v53
	;; [unrolled: 1-line block ×3, first 2 shown]
	v_fma_f16 v20, v32, v54, -v70
	v_add_f16_e32 v14, v42, v43
	v_sub_f16_e32 v15, v38, v18
	v_sub_f16_e32 v16, v19, v37
	v_add_f16_e32 v32, v5, v2
	v_fmac_f16_e32 v27, v13, v55
	v_sub_f16_e32 v13, v39, v17
	v_fma_f16 v21, v33, v52, -v68
	v_sub_f16_e32 v33, v5, v2
	v_sub_f16_e32 v2, v2, v14
	;; [unrolled: 1-line block ×3, first 2 shown]
	v_add_f16_e32 v34, v16, v15
	v_sub_f16_e32 v35, v16, v15
	v_add_f16_e32 v14, v14, v32
	v_sub_f16_e32 v15, v15, v13
	v_sub_f16_e32 v16, v13, v16
	v_add_f16_e32 v13, v34, v13
	v_mul_f16_e32 v2, 0x3a52, v2
	v_mul_f16_e32 v34, 0x3846, v35
	v_add_f16_e32 v12, v12, v14
	v_mul_f16_e32 v35, 0xbb00, v15
	v_mul_f16_e32 v32, 0x2b26, v5
	v_fmamk_f16 v5, v5, 0x2b26, v2
	v_fmamk_f16 v36, v16, 0xb574, v34
	;; [unrolled: 1-line block ×3, first 2 shown]
	v_fma_f16 v16, v16, 0x3574, -v35
	v_fma_f16 v2, v33, 0xb9e0, -v2
	;; [unrolled: 1-line block ×4, first 2 shown]
	v_mul_f16_sdwa v29, v61, v59 dst_sel:DWORD dst_unused:UNUSED_PAD src0_sel:DWORD src1_sel:WORD_1
	v_mul_f16_sdwa v73, v60, v59 dst_sel:DWORD dst_unused:UNUSED_PAD src0_sel:DWORD src1_sel:WORD_1
	v_fmac_f16_e32 v36, 0xb70e, v13
	v_add_f16_e32 v5, v5, v14
	v_fmac_f16_e32 v16, 0xb70e, v13
	v_add_f16_e32 v2, v2, v14
	;; [unrolled: 2-line block ×3, first 2 shown]
	v_fmac_f16_e32 v29, v60, v59
	v_fma_f16 v32, v61, v59, -v73
	ds_write_b16 v23, v12
	v_add_f16_e32 v12, v36, v5
	v_add_f16_e32 v14, v16, v2
	v_sub_f16_e32 v33, v13, v15
	v_add_f16_e32 v13, v15, v13
	v_sub_f16_e32 v2, v2, v16
	v_sub_f16_e32 v5, v5, v36
	ds_write_b16 v23, v12 offset:68
	ds_write_b16 v23, v14 offset:136
	;; [unrolled: 1-line block ×6, first 2 shown]
	s_and_saveexec_b32 s1, s0
	s_cbranch_execz .LBB0_21
; %bb.20:
	v_add_f16_e32 v2, v25, v29
	v_add_f16_e32 v5, v24, v28
	;; [unrolled: 1-line block ×3, first 2 shown]
	v_sub_f16_e32 v14, v30, v20
	v_sub_f16_e32 v16, v22, v31
	;; [unrolled: 1-line block ×3, first 2 shown]
	v_add_f16_e32 v15, v5, v2
	v_sub_f16_e32 v33, v2, v12
	v_sub_f16_e32 v34, v12, v5
	;; [unrolled: 1-line block ×4, first 2 shown]
	v_add_f16_e32 v12, v12, v15
	v_sub_f16_e32 v15, v14, v16
	v_add_f16_e32 v14, v14, v16
	v_sub_f16_e32 v16, v16, v13
	v_mul_f16_e32 v33, 0x3a52, v33
	v_add_f16_e32 v4, v4, v12
	v_mul_f16_e32 v15, 0x3846, v15
	v_add_f16_e32 v13, v14, v13
	v_mul_f16_e32 v5, 0xbb00, v16
	v_fmamk_f16 v36, v34, 0x2b26, v33
	v_fma_f16 v14, v2, 0xb9e0, -v33
	v_mul_f16_e32 v33, 0x2b26, v34
	v_fmamk_f16 v12, v12, 0xbcab, v4
	v_fmamk_f16 v48, v35, 0xb574, v15
	v_fma_f16 v5, v35, 0x3574, -v5
	v_fma_f16 v15, v16, 0xbb00, -v15
	;; [unrolled: 1-line block ×3, first 2 shown]
	v_mul_u32_u24_sdwa v16, v6, v46 dst_sel:DWORD dst_unused:UNUSED_PAD src0_sel:WORD_0 src1_sel:DWORD
	v_lshlrev_b32_sdwa v33, v47, v8 dst_sel:DWORD dst_unused:UNUSED_PAD src0_sel:DWORD src1_sel:BYTE_0
	v_add_f16_e32 v34, v36, v12
	v_fmac_f16_e32 v48, 0xb70e, v13
	v_add_f16_e32 v14, v14, v12
	v_fmac_f16_e32 v5, 0xb70e, v13
	v_fmac_f16_e32 v15, 0xb70e, v13
	v_add_f16_e32 v2, v2, v12
	v_add3_u32 v13, 0, v16, v33
	v_add_f16_e32 v16, v48, v34
	v_sub_f16_e32 v12, v14, v5
	v_add_f16_e32 v5, v5, v14
	v_sub_f16_e32 v14, v2, v15
	;; [unrolled: 2-line block ×3, first 2 shown]
	ds_write_b16 v13, v4
	ds_write_b16 v13, v16 offset:68
	ds_write_b16 v13, v5 offset:136
	;; [unrolled: 1-line block ×6, first 2 shown]
.LBB0_21:
	s_or_b32 exec_lo, exec_lo, s1
	v_add_f16_e32 v2, v39, v17
	v_add_f16_e32 v4, v38, v18
	;; [unrolled: 1-line block ×3, first 2 shown]
	v_sub_f16_e32 v13, v40, v44
	v_sub_f16_e32 v14, v43, v42
	;; [unrolled: 1-line block ×3, first 2 shown]
	v_add_f16_e32 v15, v4, v2
	v_sub_f16_e32 v16, v4, v2
	v_sub_f16_e32 v2, v2, v12
	;; [unrolled: 1-line block ×3, first 2 shown]
	v_add_f16_e32 v17, v14, v13
	v_add_f16_e32 v12, v12, v15
	v_sub_f16_e32 v15, v14, v13
	v_sub_f16_e32 v14, v5, v14
	;; [unrolled: 1-line block ×3, first 2 shown]
	v_add_f16_e32 v33, v17, v5
	v_add_f16_e32 v34, v11, v12
	v_mul_f16_e32 v2, 0x3a52, v2
	v_mul_f16_e32 v5, 0x2b26, v4
	;; [unrolled: 1-line block ×4, first 2 shown]
	v_fmamk_f16 v12, v12, 0xbcab, v34
	v_fmamk_f16 v4, v4, 0x2b26, v2
	v_fma_f16 v5, v16, 0x39e0, -v5
	v_fma_f16 v2, v16, 0xb9e0, -v2
	v_fmamk_f16 v35, v14, 0xb574, v11
	v_fma_f16 v36, v13, 0xbb00, -v11
	v_fma_f16 v37, v14, 0x3574, -v15
	v_add_f16_e32 v38, v4, v12
	v_add_f16_e32 v39, v5, v12
	;; [unrolled: 1-line block ×3, first 2 shown]
	s_waitcnt lgkmcnt(0)
	s_barrier
	buffer_gl0_inv
	ds_read_u16 v2, v0
	ds_read_u16 v5, v0 offset:1904
	ds_read_u16 v15, v0 offset:1666
	ds_read_u16 v11, v0 offset:1428
	ds_read_u16 v17, v0 offset:1190
	ds_read_u16 v13, v0 offset:952
	ds_read_u16 v16, v0 offset:714
	ds_read_u16 v12, v0 offset:476
	ds_read_u16 v4, v0 offset:238
	ds_read_u16 v18, v0 offset:2618
	ds_read_u16 v14, v0 offset:2380
	ds_read_u16 v19, v0 offset:2142
	v_fmac_f16_e32 v35, 0xb70e, v33
	v_fmac_f16_e32 v37, 0xb70e, v33
	;; [unrolled: 1-line block ×3, first 2 shown]
	s_waitcnt lgkmcnt(0)
	s_barrier
	v_sub_f16_e32 v33, v38, v35
	v_sub_f16_e32 v41, v40, v37
	v_add_f16_e32 v42, v36, v39
	v_sub_f16_e32 v36, v39, v36
	v_add_f16_e32 v37, v37, v40
	v_add_f16_e32 v35, v35, v38
	buffer_gl0_inv
	ds_write_b16 v23, v34
	ds_write_b16 v23, v33 offset:68
	ds_write_b16 v23, v41 offset:136
	;; [unrolled: 1-line block ×6, first 2 shown]
	s_and_saveexec_b32 s1, s0
	s_cbranch_execz .LBB0_23
; %bb.22:
	v_add_f16_e32 v21, v21, v32
	v_add_f16_e32 v22, v22, v31
	v_sub_f16_e32 v23, v25, v29
	v_add_f16_e32 v20, v20, v30
	v_sub_f16_e32 v24, v24, v28
	v_sub_f16_e32 v25, v27, v26
	v_add_f16_e32 v26, v22, v21
	v_sub_f16_e32 v27, v22, v21
	v_sub_f16_e32 v21, v21, v20
	;; [unrolled: 1-line block ×3, first 2 shown]
	v_add_f16_e32 v28, v25, v24
	v_add_f16_e32 v20, v20, v26
	v_sub_f16_e32 v26, v25, v24
	v_sub_f16_e32 v25, v23, v25
	;; [unrolled: 1-line block ×3, first 2 shown]
	v_add_f16_e32 v23, v28, v23
	v_add_f16_e32 v3, v3, v20
	v_mul_f16_e32 v28, 0x2b26, v22
	v_mul_f16_e32 v21, 0x3a52, v21
	;; [unrolled: 1-line block ×4, first 2 shown]
	v_fmamk_f16 v20, v20, 0xbcab, v3
	v_fma_f16 v28, v27, 0x39e0, -v28
	v_fmamk_f16 v22, v22, 0x2b26, v21
	v_fma_f16 v21, v27, 0xb9e0, -v21
	v_fmamk_f16 v27, v25, 0xb574, v26
	v_fma_f16 v24, v24, 0xbb00, -v26
	v_fma_f16 v25, v25, 0x3574, -v29
	v_add_f16_e32 v26, v28, v20
	v_mov_b32_e32 v28, 0x1dc
	v_mov_b32_e32 v29, 1
	v_add_f16_e32 v22, v22, v20
	v_fmac_f16_e32 v27, 0xb70e, v23
	v_add_f16_e32 v20, v21, v20
	v_mul_u32_u24_sdwa v6, v6, v28 dst_sel:DWORD dst_unused:UNUSED_PAD src0_sel:WORD_0 src1_sel:DWORD
	v_lshlrev_b32_sdwa v8, v29, v8 dst_sel:DWORD dst_unused:UNUSED_PAD src0_sel:DWORD src1_sel:BYTE_0
	v_fmac_f16_e32 v25, 0xb70e, v23
	v_fmac_f16_e32 v24, 0xb70e, v23
	v_sub_f16_e32 v21, v22, v27
	v_add_f16_e32 v22, v27, v22
	v_add3_u32 v6, 0, v6, v8
	v_sub_f16_e32 v23, v20, v25
	v_add_f16_e32 v8, v24, v26
	v_sub_f16_e32 v24, v26, v24
	v_add_f16_e32 v20, v25, v20
	ds_write_b16 v6, v3
	ds_write_b16 v6, v21 offset:68
	ds_write_b16 v6, v23 offset:136
	;; [unrolled: 1-line block ×6, first 2 shown]
.LBB0_23:
	s_or_b32 exec_lo, exec_lo, s1
	s_waitcnt lgkmcnt(0)
	s_barrier
	buffer_gl0_inv
	s_and_saveexec_b32 s0, vcc_lo
	s_cbranch_execz .LBB0_25
; %bb.24:
	v_mul_u32_u24_e32 v3, 5, v1
	v_mul_u32_u24_e32 v6, 5, v7
	v_mov_b32_e32 v8, 0
	v_add_co_u32 v9, vcc_lo, s2, v9
	v_lshlrev_b32_e32 v3, 2, v3
	v_lshlrev_b32_e32 v6, 2, v6
	v_add_co_ci_u32_e32 v10, vcc_lo, s3, v10, vcc_lo
	s_clause 0x3
	global_load_dwordx4 v[20:23], v3, s[8:9] offset:884
	global_load_dword v3, v3, s[8:9] offset:900
	global_load_dwordx4 v[24:27], v6, s[8:9] offset:884
	global_load_dword v36, v6, s[8:9] offset:900
	ds_read_u16 v37, v0 offset:1666
	ds_read_u16 v38, v0 offset:1428
	;; [unrolled: 1-line block ×7, first 2 shown]
	ds_read_u16 v44, v0
	ds_read_u16 v45, v0 offset:2618
	ds_read_u16 v46, v0 offset:2380
	ds_read_u16 v47, v0 offset:2142
	ds_read_u16 v48, v0 offset:1904
	v_mul_hi_u32 v6, 0x44d72045, v1
	v_lshlrev_b64 v[0:1], 2, v[7:8]
	v_add_co_u32 v0, vcc_lo, v9, v0
	v_add_co_ci_u32_e32 v1, vcc_lo, v10, v1, vcc_lo
	v_lshrrev_b32_e32 v6, 6, v6
	v_mul_u32_u24_e32 v7, 0x4a6, v6
	v_lshlrev_b64 v[6:7], 2, v[7:8]
	v_add_co_u32 v8, vcc_lo, 0x800, v0
	v_add_co_ci_u32_e32 v9, vcc_lo, 0, v1, vcc_lo
	v_add_co_u32 v6, vcc_lo, v0, v6
	v_add_co_ci_u32_e32 v7, vcc_lo, v1, v7, vcc_lo
	;; [unrolled: 2-line block ×6, first 2 shown]
	s_waitcnt vmcnt(2)
	v_lshrrev_b32_e32 v56, 16, v3
	v_lshrrev_b32_e32 v10, 16, v20
	;; [unrolled: 1-line block ×3, first 2 shown]
	v_mul_f16_sdwa v50, v17, v21 dst_sel:DWORD dst_unused:UNUSED_PAD src0_sel:DWORD src1_sel:WORD_1
	v_mul_f16_sdwa v51, v19, v23 dst_sel:DWORD dst_unused:UNUSED_PAD src0_sel:DWORD src1_sel:WORD_1
	s_waitcnt lgkmcnt(9)
	v_mul_f16_sdwa v52, v39, v21 dst_sel:DWORD dst_unused:UNUSED_PAD src0_sel:DWORD src1_sel:WORD_1
	v_mul_f16_e32 v54, v16, v20
	s_waitcnt vmcnt(1)
	v_lshrrev_b32_e32 v59, 16, v26
	s_waitcnt lgkmcnt(0)
	v_mul_f16_sdwa v63, v48, v27 dst_sel:DWORD dst_unused:UNUSED_PAD src0_sel:DWORD src1_sel:WORD_1
	s_waitcnt vmcnt(0)
	v_lshrrev_b32_e32 v66, 16, v36
	v_mul_f16_sdwa v53, v47, v23 dst_sel:DWORD dst_unused:UNUSED_PAD src0_sel:DWORD src1_sel:WORD_1
	v_mul_f16_e32 v55, v15, v22
	v_lshrrev_b32_e32 v58, 16, v24
	v_mul_f16_sdwa v60, v13, v25 dst_sel:DWORD dst_unused:UNUSED_PAD src0_sel:DWORD src1_sel:WORD_1
	v_mul_f16_sdwa v61, v5, v27 dst_sel:DWORD dst_unused:UNUSED_PAD src0_sel:DWORD src1_sel:WORD_1
	;; [unrolled: 1-line block ×3, first 2 shown]
	v_mul_f16_e32 v64, v12, v24
	v_mul_f16_e32 v65, v11, v26
	;; [unrolled: 1-line block ×3, first 2 shown]
	v_fma_f16 v39, v39, v21, -v50
	v_fma_f16 v47, v47, v23, -v51
	v_fmac_f16_e32 v52, v17, v21
	v_fmac_f16_e32 v54, v41, v10
	v_mul_f16_e32 v15, v15, v49
	v_mul_f16_e32 v17, v18, v56
	;; [unrolled: 1-line block ×3, first 2 shown]
	v_fmac_f16_e32 v63, v5, v27
	v_mul_f16_e32 v5, v11, v59
	v_mul_f16_e32 v11, v14, v66
	;; [unrolled: 1-line block ×3, first 2 shown]
	v_fmac_f16_e32 v53, v19, v23
	v_fmac_f16_e32 v55, v37, v49
	v_fma_f16 v16, v40, v25, -v60
	v_fma_f16 v18, v48, v27, -v61
	v_fmac_f16_e32 v62, v13, v25
	v_fmac_f16_e32 v64, v42, v58
	;; [unrolled: 1-line block ×4, first 2 shown]
	v_mul_f16_e32 v12, v12, v58
	v_add_f16_e32 v13, v39, v47
	v_fma_f16 v15, v37, v22, -v15
	v_fma_f16 v3, v45, v3, -v17
	;; [unrolled: 1-line block ×5, first 2 shown]
	v_fmac_f16_e32 v57, v45, v56
	v_add_f16_e32 v20, v43, v39
	v_add_f16_e32 v21, v52, v53
	v_sub_f16_e32 v22, v39, v47
	v_add_f16_e32 v23, v4, v52
	v_add_f16_e32 v25, v54, v55
	;; [unrolled: 1-line block ×4, first 2 shown]
	v_fma_f16 v12, v42, v24, -v12
	v_add_f16_e32 v26, v44, v16
	v_add_f16_e32 v36, v62, v63
	;; [unrolled: 1-line block ×4, first 2 shown]
	v_fma_f16 v13, -0.5, v13, v43
	v_sub_f16_e32 v41, v15, v3
	v_add_f16_e32 v42, v15, v3
	v_add_f16_e32 v15, v10, v15
	;; [unrolled: 1-line block ×4, first 2 shown]
	v_sub_f16_e32 v17, v55, v57
	v_sub_f16_e32 v24, v65, v67
	v_sub_f16_e32 v16, v16, v18
	v_add_f16_e32 v20, v20, v47
	v_fma_f16 v4, -0.5, v21, v4
	v_add_f16_e32 v21, v23, v53
	v_add_f16_e32 v23, v25, v57
	v_fma_f16 v25, -0.5, v27, v44
	v_fma_f16 v27, -0.5, v39, v64
	v_sub_f16_e32 v39, v5, v11
	v_add_f16_e32 v18, v26, v18
	v_add_f16_e32 v5, v12, v5
	v_fma_f16 v2, -0.5, v36, v2
	v_add_f16_e32 v26, v38, v63
	v_add_f16_e32 v36, v40, v67
	v_fma_f16 v10, -0.5, v42, v10
	v_add_f16_e32 v3, v15, v3
	v_fma_f16 v12, -0.5, v43, v12
	v_fma_f16 v19, -0.5, v19, v54
	v_add_f16_e32 v5, v5, v11
	v_fmamk_f16 v11, v16, 0x3aee, v2
	v_fmac_f16_e32 v2, 0xbaee, v16
	v_sub_f16_e32 v16, v26, v36
	v_add_f16_e32 v26, v26, v36
	v_fmamk_f16 v36, v17, 0xbaee, v10
	v_fmac_f16_e32 v10, 0x3aee, v17
	v_sub_f16_e32 v17, v20, v3
	;; [unrolled: 4-line block ×3, first 2 shown]
	v_sub_f16_e32 v37, v62, v63
	v_fmamk_f16 v40, v41, 0x3aee, v19
	v_fmac_f16_e32 v19, 0xbaee, v41
	v_sub_f16_e32 v15, v21, v23
	v_add_f16_e32 v21, v21, v23
	v_fmamk_f16 v23, v39, 0x3aee, v27
	v_fmac_f16_e32 v27, 0xbaee, v39
	v_mul_f16_e32 v41, 0.5, v12
	v_mul_f16_e32 v12, 0xbaee, v12
	v_mul_f16_e32 v39, -0.5, v20
	v_mul_f16_e32 v20, 0xbaee, v20
	v_fmamk_f16 v38, v14, 0xbaee, v13
	v_fmac_f16_e32 v13, 0x3aee, v14
	v_fmamk_f16 v14, v22, 0x3aee, v4
	v_fmac_f16_e32 v4, 0xbaee, v22
	;; [unrolled: 2-line block ×3, first 2 shown]
	v_sub_f16_e32 v24, v18, v5
	v_add_f16_e32 v5, v18, v5
	v_mul_f16_e32 v18, -0.5, v36
	v_mul_f16_e32 v37, 0.5, v10
	v_mul_f16_e32 v36, 0xbaee, v36
	v_mul_f16_e32 v10, 0xbaee, v10
	v_fmac_f16_e32 v41, 0x3aee, v27
	v_fmac_f16_e32 v12, 0.5, v27
	v_fmac_f16_e32 v39, 0x3aee, v23
	v_fmac_f16_e32 v20, -0.5, v23
	v_pack_b32_f16 v5, v26, v5
	v_pack_b32_f16 v16, v16, v24
	v_fmac_f16_e32 v18, 0x3aee, v40
	v_fmac_f16_e32 v37, 0x3aee, v19
	v_fmac_f16_e32 v36, -0.5, v40
	v_fmac_f16_e32 v10, 0.5, v19
	v_sub_f16_e32 v23, v25, v41
	v_add_f16_e32 v24, v25, v41
	v_add_f16_e32 v25, v2, v12
	v_pack_b32_f16 v3, v21, v3
	v_sub_f16_e32 v21, v22, v39
	v_add_f16_e32 v22, v22, v39
	v_add_f16_e32 v26, v11, v20
	v_sub_f16_e32 v2, v2, v12
	v_sub_f16_e32 v11, v11, v20
	v_pack_b32_f16 v15, v15, v17
	global_store_dword v[0:1], v5, off
	global_store_dword v[8:9], v16, off offset:808
	v_sub_f16_e32 v5, v38, v18
	v_sub_f16_e32 v16, v13, v37
	;; [unrolled: 1-line block ×4, first 2 shown]
	v_add_f16_e32 v18, v38, v18
	v_add_f16_e32 v13, v13, v37
	;; [unrolled: 1-line block ×4, first 2 shown]
	v_pack_b32_f16 v10, v25, v24
	v_pack_b32_f16 v12, v26, v22
	;; [unrolled: 1-line block ×8, first 2 shown]
	global_store_dword v[0:1], v10, off offset:952
	global_store_dword v[0:1], v12, off offset:1904
	global_store_dword v[8:9], v2, off offset:1760
	global_store_dword v[28:29], v11, off offset:664
	global_store_dword v[6:7], v3, off offset:476
	global_store_dword v[6:7], v4, off offset:1428
	global_store_dword v[30:31], v13, off offset:1904
	global_store_dword v[32:33], v15, off offset:1284
	global_store_dword v[34:35], v14, off offset:188
	global_store_dword v[34:35], v5, off offset:1140
.LBB0_25:
	s_endpgm
	.section	.rodata,"a",@progbits
	.p2align	6, 0x0
	.amdhsa_kernel fft_rtc_back_len1428_factors_17_2_7_6_wgs_119_tpt_119_halfLds_half_ip_CI_unitstride_sbrr_dirReg
		.amdhsa_group_segment_fixed_size 0
		.amdhsa_private_segment_fixed_size 0
		.amdhsa_kernarg_size 88
		.amdhsa_user_sgpr_count 6
		.amdhsa_user_sgpr_private_segment_buffer 1
		.amdhsa_user_sgpr_dispatch_ptr 0
		.amdhsa_user_sgpr_queue_ptr 0
		.amdhsa_user_sgpr_kernarg_segment_ptr 1
		.amdhsa_user_sgpr_dispatch_id 0
		.amdhsa_user_sgpr_flat_scratch_init 0
		.amdhsa_user_sgpr_private_segment_size 0
		.amdhsa_wavefront_size32 1
		.amdhsa_uses_dynamic_stack 0
		.amdhsa_system_sgpr_private_segment_wavefront_offset 0
		.amdhsa_system_sgpr_workgroup_id_x 1
		.amdhsa_system_sgpr_workgroup_id_y 0
		.amdhsa_system_sgpr_workgroup_id_z 0
		.amdhsa_system_sgpr_workgroup_info 0
		.amdhsa_system_vgpr_workitem_id 0
		.amdhsa_next_free_vgpr 126
		.amdhsa_next_free_sgpr 21
		.amdhsa_reserve_vcc 1
		.amdhsa_reserve_flat_scratch 0
		.amdhsa_float_round_mode_32 0
		.amdhsa_float_round_mode_16_64 0
		.amdhsa_float_denorm_mode_32 3
		.amdhsa_float_denorm_mode_16_64 3
		.amdhsa_dx10_clamp 1
		.amdhsa_ieee_mode 1
		.amdhsa_fp16_overflow 0
		.amdhsa_workgroup_processor_mode 1
		.amdhsa_memory_ordered 1
		.amdhsa_forward_progress 0
		.amdhsa_shared_vgpr_count 0
		.amdhsa_exception_fp_ieee_invalid_op 0
		.amdhsa_exception_fp_denorm_src 0
		.amdhsa_exception_fp_ieee_div_zero 0
		.amdhsa_exception_fp_ieee_overflow 0
		.amdhsa_exception_fp_ieee_underflow 0
		.amdhsa_exception_fp_ieee_inexact 0
		.amdhsa_exception_int_div_zero 0
	.end_amdhsa_kernel
	.text
.Lfunc_end0:
	.size	fft_rtc_back_len1428_factors_17_2_7_6_wgs_119_tpt_119_halfLds_half_ip_CI_unitstride_sbrr_dirReg, .Lfunc_end0-fft_rtc_back_len1428_factors_17_2_7_6_wgs_119_tpt_119_halfLds_half_ip_CI_unitstride_sbrr_dirReg
                                        ; -- End function
	.section	.AMDGPU.csdata,"",@progbits
; Kernel info:
; codeLenInByte = 12180
; NumSgprs: 23
; NumVgprs: 126
; ScratchSize: 0
; MemoryBound: 0
; FloatMode: 240
; IeeeMode: 1
; LDSByteSize: 0 bytes/workgroup (compile time only)
; SGPRBlocks: 2
; VGPRBlocks: 15
; NumSGPRsForWavesPerEU: 23
; NumVGPRsForWavesPerEU: 126
; Occupancy: 8
; WaveLimiterHint : 1
; COMPUTE_PGM_RSRC2:SCRATCH_EN: 0
; COMPUTE_PGM_RSRC2:USER_SGPR: 6
; COMPUTE_PGM_RSRC2:TRAP_HANDLER: 0
; COMPUTE_PGM_RSRC2:TGID_X_EN: 1
; COMPUTE_PGM_RSRC2:TGID_Y_EN: 0
; COMPUTE_PGM_RSRC2:TGID_Z_EN: 0
; COMPUTE_PGM_RSRC2:TIDIG_COMP_CNT: 0
	.text
	.p2alignl 6, 3214868480
	.fill 48, 4, 3214868480
	.type	__hip_cuid_b22aa6ac9023e9cc,@object ; @__hip_cuid_b22aa6ac9023e9cc
	.section	.bss,"aw",@nobits
	.globl	__hip_cuid_b22aa6ac9023e9cc
__hip_cuid_b22aa6ac9023e9cc:
	.byte	0                               ; 0x0
	.size	__hip_cuid_b22aa6ac9023e9cc, 1

	.ident	"AMD clang version 19.0.0git (https://github.com/RadeonOpenCompute/llvm-project roc-6.4.0 25133 c7fe45cf4b819c5991fe208aaa96edf142730f1d)"
	.section	".note.GNU-stack","",@progbits
	.addrsig
	.addrsig_sym __hip_cuid_b22aa6ac9023e9cc
	.amdgpu_metadata
---
amdhsa.kernels:
  - .args:
      - .actual_access:  read_only
        .address_space:  global
        .offset:         0
        .size:           8
        .value_kind:     global_buffer
      - .offset:         8
        .size:           8
        .value_kind:     by_value
      - .actual_access:  read_only
        .address_space:  global
        .offset:         16
        .size:           8
        .value_kind:     global_buffer
      - .actual_access:  read_only
        .address_space:  global
        .offset:         24
        .size:           8
        .value_kind:     global_buffer
      - .offset:         32
        .size:           8
        .value_kind:     by_value
      - .actual_access:  read_only
        .address_space:  global
        .offset:         40
        .size:           8
        .value_kind:     global_buffer
      - .actual_access:  read_only
        .address_space:  global
        .offset:         48
        .size:           8
        .value_kind:     global_buffer
      - .offset:         56
        .size:           4
        .value_kind:     by_value
      - .actual_access:  read_only
        .address_space:  global
        .offset:         64
        .size:           8
        .value_kind:     global_buffer
      - .actual_access:  read_only
        .address_space:  global
        .offset:         72
        .size:           8
        .value_kind:     global_buffer
      - .address_space:  global
        .offset:         80
        .size:           8
        .value_kind:     global_buffer
    .group_segment_fixed_size: 0
    .kernarg_segment_align: 8
    .kernarg_segment_size: 88
    .language:       OpenCL C
    .language_version:
      - 2
      - 0
    .max_flat_workgroup_size: 119
    .name:           fft_rtc_back_len1428_factors_17_2_7_6_wgs_119_tpt_119_halfLds_half_ip_CI_unitstride_sbrr_dirReg
    .private_segment_fixed_size: 0
    .sgpr_count:     23
    .sgpr_spill_count: 0
    .symbol:         fft_rtc_back_len1428_factors_17_2_7_6_wgs_119_tpt_119_halfLds_half_ip_CI_unitstride_sbrr_dirReg.kd
    .uniform_work_group_size: 1
    .uses_dynamic_stack: false
    .vgpr_count:     126
    .vgpr_spill_count: 0
    .wavefront_size: 32
    .workgroup_processor_mode: 1
amdhsa.target:   amdgcn-amd-amdhsa--gfx1030
amdhsa.version:
  - 1
  - 2
...

	.end_amdgpu_metadata
